;; amdgpu-corpus repo=ROCm/rocFFT kind=compiled arch=gfx906 opt=O3
	.text
	.amdgcn_target "amdgcn-amd-amdhsa--gfx906"
	.amdhsa_code_object_version 6
	.protected	bluestein_single_back_len1620_dim1_sp_op_CI_CI ; -- Begin function bluestein_single_back_len1620_dim1_sp_op_CI_CI
	.globl	bluestein_single_back_len1620_dim1_sp_op_CI_CI
	.p2align	8
	.type	bluestein_single_back_len1620_dim1_sp_op_CI_CI,@function
bluestein_single_back_len1620_dim1_sp_op_CI_CI: ; @bluestein_single_back_len1620_dim1_sp_op_CI_CI
; %bb.0:
	s_load_dwordx4 s[16:19], s[4:5], 0x28
	v_mul_u32_u24_e32 v1, 0x195, v0
	v_add_u32_sdwa v84, s6, v1 dst_sel:DWORD dst_unused:UNUSED_PAD src0_sel:DWORD src1_sel:WORD_1
	v_mov_b32_e32 v85, 0
	s_waitcnt lgkmcnt(0)
	v_cmp_gt_u64_e32 vcc, s[16:17], v[84:85]
	s_and_saveexec_b64 s[0:1], vcc
	s_cbranch_execz .LBB0_34
; %bb.1:
	s_load_dwordx4 s[8:11], s[4:5], 0x18
	s_load_dwordx4 s[12:15], s[4:5], 0x0
	s_movk_i32 s6, 0xa2
	v_mul_lo_u16_sdwa v1, v1, s6 dst_sel:DWORD dst_unused:UNUSED_PAD src0_sel:WORD_1 src1_sel:DWORD
	v_sub_u16_e32 v114, v0, v1
	s_waitcnt lgkmcnt(0)
	s_load_dwordx4 s[0:3], s[8:9], 0x0
	v_lshlrev_b32_e32 v113, 3, v114
	s_load_dwordx2 s[16:17], s[4:5], 0x38
	s_mov_b32 s4, 0x3f737871
	s_mov_b32 s5, 0x3f167918
	s_waitcnt lgkmcnt(0)
	v_mad_u64_u32 v[0:1], s[6:7], s2, v84, 0
	v_mad_u64_u32 v[2:3], s[6:7], s0, v114, 0
	s_mul_hi_u32 s6, s0, 0x510
	s_mulk_i32 s0, 0x510
	v_mad_u64_u32 v[4:5], s[2:3], s3, v84, v[1:2]
                                        ; implicit-def: $vgpr36
	v_mad_u64_u32 v[5:6], s[2:3], s1, v114, v[3:4]
	v_mov_b32_e32 v1, v4
	v_lshlrev_b64 v[0:1], 3, v[0:1]
	v_mov_b32_e32 v6, s19
	v_mov_b32_e32 v3, v5
	v_add_co_u32_e32 v4, vcc, s18, v0
	v_addc_co_u32_e32 v5, vcc, v6, v1, vcc
	v_lshlrev_b64 v[0:1], 3, v[2:3]
	v_mov_b32_e32 v2, s13
	v_add_co_u32_e32 v0, vcc, v4, v0
	v_add_co_u32_e64 v115, s[2:3], s12, v113
	s_mulk_i32 s1, 0x510
	v_addc_co_u32_e32 v1, vcc, v5, v1, vcc
	v_addc_co_u32_e64 v19, vcc, 0, v2, s[2:3]
	s_add_i32 s1, s6, s1
	v_mov_b32_e32 v3, s1
	v_add_co_u32_e32 v2, vcc, s0, v0
	v_addc_co_u32_e32 v3, vcc, v1, v3, vcc
	v_mov_b32_e32 v5, s1
	v_add_co_u32_e32 v4, vcc, s0, v2
	v_addc_co_u32_e32 v5, vcc, v3, v5, vcc
	;; [unrolled: 3-line block ×3, first 2 shown]
	global_load_dwordx2 v[8:9], v[0:1], off
	global_load_dwordx2 v[10:11], v[2:3], off
	;; [unrolled: 1-line block ×4, first 2 shown]
	global_load_dwordx2 v[103:104], v113, s[12:13]
	global_load_dwordx2 v[101:102], v113, s[12:13] offset:1296
	global_load_dwordx2 v[95:96], v113, s[12:13] offset:2592
	;; [unrolled: 1-line block ×3, first 2 shown]
	v_mov_b32_e32 v1, s1
	v_add_co_u32_e32 v0, vcc, s0, v6
	v_addc_co_u32_e32 v1, vcc, v7, v1, vcc
	s_movk_i32 s6, 0x1000
	v_add_co_u32_e32 v4, vcc, s6, v115
	v_addc_co_u32_e32 v5, vcc, 0, v19, vcc
	global_load_dwordx2 v[2:3], v[0:1], off
	v_mov_b32_e32 v6, s1
	v_add_co_u32_e32 v0, vcc, s0, v0
	v_addc_co_u32_e32 v1, vcc, v1, v6, vcc
	global_load_dwordx2 v[6:7], v[0:1], off
	v_mov_b32_e32 v16, s1
	v_add_co_u32_e32 v0, vcc, s0, v0
	v_addc_co_u32_e32 v1, vcc, v1, v16, vcc
	global_load_dwordx2 v[16:17], v[0:1], off
	global_load_dwordx2 v[99:100], v[4:5], off offset:1088
	global_load_dwordx2 v[97:98], v[4:5], off offset:2384
	;; [unrolled: 1-line block ×3, first 2 shown]
	v_mov_b32_e32 v4, s1
	v_add_co_u32_e32 v0, vcc, s0, v0
	v_addc_co_u32_e32 v1, vcc, v1, v4, vcc
	s_movk_i32 s6, 0x2000
	v_add_co_u32_e32 v18, vcc, s6, v115
	v_addc_co_u32_e32 v19, vcc, 0, v19, vcc
	global_load_dwordx2 v[4:5], v[0:1], off
	v_mov_b32_e32 v20, s1
	v_add_co_u32_e32 v0, vcc, s0, v0
	global_load_dwordx2 v[93:94], v[18:19], off offset:880
	v_addc_co_u32_e32 v1, vcc, v1, v20, vcc
	global_load_dwordx2 v[20:21], v[0:1], off
	global_load_dwordx2 v[87:88], v[18:19], off offset:2176
	v_mov_b32_e32 v22, s1
	v_add_co_u32_e32 v0, vcc, s0, v0
	v_addc_co_u32_e32 v1, vcc, v1, v22, vcc
	global_load_dwordx2 v[22:23], v[0:1], off
	global_load_dwordx2 v[85:86], v[18:19], off offset:3472
	s_load_dwordx4 s[8:11], s[10:11], 0x0
	s_mov_b32 s1, 0xbf737871
	s_mov_b32 s0, 0xbf167918
	s_waitcnt vmcnt(15)
	v_mul_f32_e32 v0, v9, v104
	v_mul_f32_e32 v1, v8, v104
	v_fmac_f32_e32 v0, v8, v103
	v_fma_f32 v1, v9, v103, -v1
	s_waitcnt vmcnt(14)
	v_mul_f32_e32 v8, v11, v102
	v_mul_f32_e32 v9, v10, v102
	v_fmac_f32_e32 v8, v10, v101
	v_fma_f32 v9, v11, v101, -v9
	ds_write2_b64 v113, v[0:1], v[8:9] offset1:162
	s_waitcnt vmcnt(13)
	v_mul_f32_e32 v0, v13, v96
	v_mul_f32_e32 v1, v12, v96
	s_waitcnt vmcnt(12)
	v_mul_f32_e32 v8, v15, v92
	v_mul_f32_e32 v9, v14, v92
	v_fmac_f32_e32 v0, v12, v95
	v_fma_f32 v1, v13, v95, -v1
	v_fmac_f32_e32 v8, v14, v91
	v_fma_f32 v9, v15, v91, -v9
	v_add_u32_e32 v10, 0x800, v113
	ds_write2_b64 v10, v[0:1], v[8:9] offset0:68 offset1:230
	v_add_u32_e32 v13, 0x1c00, v113
	s_waitcnt vmcnt(8)
	v_mul_f32_e32 v1, v3, v100
	v_mul_f32_e32 v0, v2, v100
	v_fmac_f32_e32 v1, v2, v99
	v_fma_f32 v2, v3, v99, -v0
	s_waitcnt vmcnt(7)
	v_mul_f32_e32 v8, v7, v98
	v_mul_f32_e32 v0, v6, v98
	v_fmac_f32_e32 v8, v6, v97
	v_fma_f32 v9, v7, v97, -v0
	v_add_u32_e32 v0, 0x1400, v113
	ds_write2_b64 v0, v[1:2], v[8:9] offset0:8 offset1:170
	s_waitcnt vmcnt(6)
	v_mul_f32_e32 v1, v17, v90
	v_mul_f32_e32 v2, v16, v90
	v_fmac_f32_e32 v1, v16, v89
	v_fma_f32 v2, v17, v89, -v2
	v_add_u32_e32 v17, 0x2800, v113
	s_waitcnt vmcnt(4)
	v_mul_f32_e32 v3, v5, v94
	v_fmac_f32_e32 v3, v4, v93
	v_mul_f32_e32 v4, v4, v94
	v_fma_f32 v4, v5, v93, -v4
	ds_write2_b64 v13, v[1:2], v[3:4] offset0:76 offset1:238
	s_waitcnt vmcnt(2)
	v_mul_f32_e32 v1, v21, v88
	v_mul_f32_e32 v2, v20, v88
	v_fmac_f32_e32 v1, v20, v87
	v_fma_f32 v2, v21, v87, -v2
	s_waitcnt vmcnt(0)
	v_mul_f32_e32 v3, v23, v86
	v_mul_f32_e32 v4, v22, v86
	v_fmac_f32_e32 v3, v22, v85
	v_fma_f32 v4, v23, v85, -v4
	ds_write2_b64 v17, v[1:2], v[3:4] offset0:16 offset1:178
	s_waitcnt lgkmcnt(0)
	s_barrier
	ds_read2_b64 v[1:4], v113 offset1:162
	ds_read2_b64 v[5:8], v10 offset0:68 offset1:230
	ds_read2_b64 v[9:12], v0 offset0:8 offset1:170
	;; [unrolled: 1-line block ×4, first 2 shown]
	s_waitcnt lgkmcnt(0)
	v_add_f32_e32 v21, v1, v5
	v_sub_f32_e32 v26, v5, v9
	v_add_f32_e32 v22, v9, v13
	v_fma_f32 v22, -0.5, v22, v1
	v_sub_f32_e32 v23, v6, v18
	v_mov_b32_e32 v24, v22
	v_fmac_f32_e32 v24, 0x3f737871, v23
	v_sub_f32_e32 v25, v10, v14
	v_sub_f32_e32 v27, v17, v13
	v_fmac_f32_e32 v22, 0xbf737871, v23
	v_fmac_f32_e32 v24, 0x3f167918, v25
	v_add_f32_e32 v26, v26, v27
	v_fmac_f32_e32 v22, 0xbf167918, v25
	v_fmac_f32_e32 v24, 0x3e9e377a, v26
	;; [unrolled: 1-line block ×3, first 2 shown]
	v_add_f32_e32 v26, v5, v17
	v_fma_f32 v26, -0.5, v26, v1
	v_mov_b32_e32 v27, v26
	v_fmac_f32_e32 v27, 0xbf737871, v25
	v_sub_f32_e32 v1, v9, v5
	v_sub_f32_e32 v28, v13, v17
	v_fmac_f32_e32 v26, 0x3f737871, v25
	v_fmac_f32_e32 v27, 0x3f167918, v23
	v_add_f32_e32 v1, v1, v28
	v_fmac_f32_e32 v26, 0xbf167918, v23
	v_fmac_f32_e32 v27, 0x3e9e377a, v1
	;; [unrolled: 1-line block ×3, first 2 shown]
	v_add_f32_e32 v1, v2, v6
	v_add_f32_e32 v1, v1, v10
	;; [unrolled: 1-line block ×7, first 2 shown]
	v_fma_f32 v25, -0.5, v1, v2
	v_add_f32_e32 v21, v21, v17
	v_sub_f32_e32 v1, v5, v17
	v_mov_b32_e32 v17, v25
	v_fmac_f32_e32 v17, 0xbf737871, v1
	v_sub_f32_e32 v5, v9, v13
	v_sub_f32_e32 v9, v6, v10
	;; [unrolled: 1-line block ×3, first 2 shown]
	v_fmac_f32_e32 v25, 0x3f737871, v1
	v_fmac_f32_e32 v17, 0xbf167918, v5
	v_add_f32_e32 v9, v9, v13
	v_fmac_f32_e32 v25, 0x3f167918, v5
	v_fmac_f32_e32 v17, 0x3e9e377a, v9
	;; [unrolled: 1-line block ×3, first 2 shown]
	v_add_f32_e32 v9, v6, v18
	v_fma_f32 v28, -0.5, v9, v2
	v_mov_b32_e32 v29, v28
	v_fmac_f32_e32 v29, 0x3f737871, v5
	v_fmac_f32_e32 v28, 0xbf737871, v5
	;; [unrolled: 1-line block ×4, first 2 shown]
	v_add_f32_e32 v1, v3, v7
	v_add_f32_e32 v1, v1, v11
	;; [unrolled: 1-line block ×3, first 2 shown]
	v_sub_f32_e32 v2, v10, v6
	v_sub_f32_e32 v6, v14, v18
	v_add_f32_e32 v13, v1, v19
	v_add_f32_e32 v1, v11, v15
	;; [unrolled: 1-line block ×3, first 2 shown]
	v_fma_f32 v10, -0.5, v1, v3
	v_fmac_f32_e32 v29, 0x3e9e377a, v2
	v_fmac_f32_e32 v28, 0x3e9e377a, v2
	v_sub_f32_e32 v1, v8, v20
	v_mov_b32_e32 v2, v10
	v_fmac_f32_e32 v2, 0x3f737871, v1
	v_sub_f32_e32 v5, v12, v16
	v_sub_f32_e32 v6, v7, v11
	v_sub_f32_e32 v9, v19, v15
	v_fmac_f32_e32 v10, 0xbf737871, v1
	v_fmac_f32_e32 v2, 0x3f167918, v5
	v_add_f32_e32 v6, v6, v9
	v_fmac_f32_e32 v10, 0xbf167918, v5
	v_fmac_f32_e32 v2, 0x3e9e377a, v6
	;; [unrolled: 1-line block ×3, first 2 shown]
	v_add_f32_e32 v6, v7, v19
	v_fma_f32 v14, -0.5, v6, v3
	v_mov_b32_e32 v18, v14
	v_fmac_f32_e32 v18, 0xbf737871, v5
	v_fmac_f32_e32 v14, 0x3f737871, v5
	;; [unrolled: 1-line block ×4, first 2 shown]
	v_add_f32_e32 v1, v4, v8
	v_add_f32_e32 v1, v1, v12
	;; [unrolled: 1-line block ×5, first 2 shown]
	v_sub_f32_e32 v3, v11, v7
	v_sub_f32_e32 v6, v15, v19
	v_fma_f32 v30, -0.5, v1, v4
	v_add_f32_e32 v3, v3, v6
	v_sub_f32_e32 v1, v7, v19
	v_mov_b32_e32 v19, v30
	v_fmac_f32_e32 v18, 0x3e9e377a, v3
	v_fmac_f32_e32 v14, 0x3e9e377a, v3
	v_fmac_f32_e32 v19, 0xbf737871, v1
	v_sub_f32_e32 v3, v11, v15
	v_sub_f32_e32 v5, v8, v12
	;; [unrolled: 1-line block ×3, first 2 shown]
	v_fmac_f32_e32 v30, 0x3f737871, v1
	v_fmac_f32_e32 v19, 0xbf167918, v3
	v_add_f32_e32 v5, v5, v6
	v_fmac_f32_e32 v30, 0x3f167918, v3
	v_fmac_f32_e32 v19, 0x3e9e377a, v5
	;; [unrolled: 1-line block ×3, first 2 shown]
	v_add_f32_e32 v5, v8, v20
	v_fmac_f32_e32 v4, -0.5, v5
	v_mov_b32_e32 v11, v4
	v_fmac_f32_e32 v11, 0x3f737871, v3
	v_sub_f32_e32 v5, v12, v8
	v_sub_f32_e32 v6, v16, v20
	v_fmac_f32_e32 v11, 0xbf167918, v1
	v_add_f32_e32 v5, v5, v6
	v_fmac_f32_e32 v4, 0xbf737871, v3
	v_fmac_f32_e32 v11, 0x3e9e377a, v5
	v_fmac_f32_e32 v4, 0x3f167918, v1
	v_fmac_f32_e32 v4, 0x3e9e377a, v5
	v_mul_f32_e32 v15, 0x3f737871, v11
	v_mul_f32_e32 v3, 0x3e9e377a, v14
	;; [unrolled: 1-line block ×4, first 2 shown]
	v_fmac_f32_e32 v15, 0x3e9e377a, v18
	v_fma_f32 v16, v4, s4, -v3
	v_fmac_f32_e32 v33, 0x3f4f1bbd, v19
	v_mul_f32_e32 v18, 0xbf737871, v18
	v_mul_f32_e32 v4, 0x3e9e377a, v4
	v_fmac_f32_e32 v12, 0x3f167918, v19
	v_mul_f32_e32 v6, 0x3f4f1bbd, v10
	v_add_f32_e32 v8, v17, v33
	v_fmac_f32_e32 v18, 0x3e9e377a, v11
	v_fma_f32 v19, v14, s1, -v4
	v_mul_f32_e32 v11, 0x3f4f1bbd, v30
	v_sub_f32_e32 v14, v17, v33
	v_mul_lo_u16_e32 v17, 10, v114
	v_add_f32_e32 v5, v21, v13
	v_add_f32_e32 v7, v24, v12
	;; [unrolled: 1-line block ×3, first 2 shown]
	v_fma_f32 v20, v30, s5, -v6
	v_add_f32_e32 v6, v23, v31
	v_fma_f32 v34, v10, s0, -v11
	v_lshlrev_b32_e32 v116, 3, v17
	v_add_f32_e32 v3, v26, v16
	v_add_f32_e32 v9, v22, v20
	;; [unrolled: 1-line block ×5, first 2 shown]
	v_sub_f32_e32 v11, v21, v13
	v_sub_f32_e32 v13, v24, v12
	;; [unrolled: 1-line block ×9, first 2 shown]
	s_barrier
	ds_write_b128 v116, v[5:8]
	ds_write_b128 v116, v[1:4] offset:16
	ds_write_b128 v116, v[9:12] offset:32
	;; [unrolled: 1-line block ×4, first 2 shown]
	v_add_u32_e32 v1, 0xa00, v113
	s_waitcnt lgkmcnt(0)
	s_barrier
	ds_read2_b64 v[16:19], v1 offset0:4 offset1:220
	v_add_u32_e32 v1, 0x2000, v113
	ds_read2_b64 v[20:23], v113 offset1:162
	ds_read2_b64 v[28:31], v1 offset0:56 offset1:218
	ds_read2_b64 v[24:27], v0 offset0:62 offset1:224
	ds_read_b64 v[38:39], v113 offset:11232
	v_cmp_gt_u16_e64 s[0:1], 54, v114
                                        ; implicit-def: $vgpr34
	s_and_saveexec_b64 s[4:5], s[0:1]
	s_cbranch_execz .LBB0_3
; %bb.2:
	ds_read_b64 v[32:33], v113 offset:3888
	ds_read_b64 v[34:35], v113 offset:8208
	;; [unrolled: 1-line block ×3, first 2 shown]
.LBB0_3:
	s_or_b64 exec, exec, s[4:5]
	v_add_co_u32_e32 v56, vcc, 0xa2, v114
	s_mov_b64 s[4:5], vcc
	s_movk_i32 s6, 0xcd
	s_mov_b32 s12, 0xcccd
	v_add_co_u32_e32 v60, vcc, 0x144, v114
	v_mul_lo_u16_sdwa v0, v114, s6 dst_sel:DWORD dst_unused:UNUSED_PAD src0_sel:BYTE_0 src1_sel:DWORD
	v_mul_u32_u24_sdwa v8, v60, s12 dst_sel:DWORD dst_unused:UNUSED_PAD src0_sel:WORD_0 src1_sel:DWORD
	v_lshrrev_b16_e32 v40, 11, v0
	v_mul_u32_u24_sdwa v1, v56, s12 dst_sel:DWORD dst_unused:UNUSED_PAD src0_sel:WORD_0 src1_sel:DWORD
	v_lshrrev_b32_e32 v44, 19, v8
	v_mul_lo_u16_e32 v0, 10, v40
	v_lshrrev_b32_e32 v42, 19, v1
	v_mul_lo_u16_e32 v8, 10, v44
	v_sub_u16_e32 v0, v114, v0
	v_mul_lo_u16_e32 v1, 10, v42
	s_mov_b64 s[6:7], vcc
	v_sub_u16_e32 v45, v60, v8
	v_add_co_u32_e32 v129, vcc, 0x1e6, v114
	v_and_b32_e32 v41, 0xff, v0
	v_sub_u16_e32 v43, v56, v1
	v_lshlrev_b16_e32 v8, 1, v45
	v_mul_u32_u24_sdwa v12, v129, s12 dst_sel:DWORD dst_unused:UNUSED_PAD src0_sel:WORD_0 src1_sel:DWORD
	v_lshlrev_b32_e32 v0, 4, v41
	v_lshlrev_b16_e32 v1, 1, v43
	v_lshlrev_b32_e32 v8, 3, v8
	v_lshrrev_b32_e32 v48, 19, v12
	global_load_dwordx4 v[4:7], v0, s[14:15]
	v_mul_lo_u16_e32 v12, 10, v48
	global_load_dwordx4 v[8:11], v8, s[14:15]
	v_lshlrev_b32_e32 v0, 3, v1
	global_load_dwordx4 v[0:3], v0, s[14:15]
	v_sub_u16_e32 v49, v129, v12
	v_lshlrev_b16_e32 v12, 1, v49
	v_lshlrev_b32_e32 v12, 3, v12
	global_load_dwordx4 v[12:15], v12, s[14:15]
	s_waitcnt vmcnt(0) lgkmcnt(0)
	s_barrier
	v_mad_legacy_u16 v124, v48, 30, v49
	v_mul_f32_e32 v46, v29, v7
	v_mul_f32_e32 v47, v28, v7
	;; [unrolled: 1-line block ×8, first 2 shown]
	v_fma_f32 v28, v28, v6, -v46
	v_fmac_f32_e32 v47, v29, v6
	v_fmac_f32_e32 v51, v31, v2
	v_fma_f32 v31, v24, v0, -v52
	v_mul_f32_e32 v24, v27, v9
	v_mul_f32_e32 v46, v26, v9
	v_fma_f32 v18, v18, v4, -v54
	v_fmac_f32_e32 v55, v19, v4
	v_fmac_f32_e32 v53, v25, v0
	v_fma_f32 v52, v26, v8, -v24
	v_fmac_f32_e32 v46, v27, v8
	v_sub_f32_e32 v27, v55, v47
	v_add_f32_e32 v25, v21, v55
	v_add_f32_e32 v26, v55, v47
	;; [unrolled: 1-line block ×3, first 2 shown]
	v_mul_f32_e32 v24, v37, v15
	v_add_f32_e32 v29, v20, v18
	v_fma_f32 v20, -0.5, v55, v20
	v_mul_f32_e32 v54, v36, v15
	v_fma_f32 v36, v36, v14, -v24
	v_mov_b32_e32 v24, v20
	v_fmac_f32_e32 v20, 0xbf5db3d7, v27
	v_fmac_f32_e32 v24, 0x3f5db3d7, v27
	v_add_f32_e32 v27, v23, v53
	v_sub_f32_e32 v57, v18, v28
	v_add_f32_e32 v18, v29, v28
	v_add_f32_e32 v29, v27, v51
	;; [unrolled: 1-line block ×3, first 2 shown]
	v_fma_f32 v30, v30, v2, -v50
	v_mul_f32_e32 v19, v39, v11
	v_add_f32_e32 v58, v22, v31
	v_fmac_f32_e32 v23, -0.5, v27
	v_mul_f32_e32 v50, v38, v11
	v_fma_f32 v38, v38, v10, -v19
	v_add_f32_e32 v59, v31, v30
	v_add_f32_e32 v28, v58, v30
	v_sub_f32_e32 v30, v31, v30
	v_mov_b32_e32 v27, v23
	v_fmac_f32_e32 v27, 0xbf5db3d7, v30
	v_fmac_f32_e32 v23, 0x3f5db3d7, v30
	v_add_f32_e32 v30, v52, v38
	v_fmac_f32_e32 v50, v39, v10
	v_mul_f32_e32 v19, v35, v13
	v_add_f32_e32 v31, v16, v52
	v_fma_f32 v16, -0.5, v30, v16
	v_mul_f32_e32 v39, v34, v13
	v_fma_f32 v62, v34, v12, -v19
	v_sub_f32_e32 v34, v46, v50
	v_mov_b32_e32 v30, v16
	v_fmac_f32_e32 v30, 0x3f5db3d7, v34
	v_fmac_f32_e32 v16, 0xbf5db3d7, v34
	v_add_f32_e32 v34, v31, v38
	v_add_f32_e32 v31, v17, v46
	v_fmac_f32_e32 v39, v35, v12
	v_add_f32_e32 v35, v31, v50
	v_add_f32_e32 v31, v46, v50
	v_fmac_f32_e32 v17, -0.5, v31
	v_fmac_f32_e32 v54, v37, v14
	v_sub_f32_e32 v37, v52, v38
	v_mov_b32_e32 v31, v17
	v_fmac_f32_e32 v31, 0xbf5db3d7, v37
	v_fmac_f32_e32 v17, 0x3f5db3d7, v37
	v_add_f32_e32 v37, v32, v62
	v_add_f32_e32 v52, v37, v36
	;; [unrolled: 1-line block ×3, first 2 shown]
	v_sub_f32_e32 v61, v53, v51
	v_add_f32_e32 v53, v37, v54
	v_add_f32_e32 v37, v39, v54
	v_fmac_f32_e32 v33, -0.5, v37
	v_add_f32_e32 v19, v25, v47
	v_fma_f32 v21, -0.5, v26, v21
	v_add_f32_e32 v38, v62, v36
	v_sub_f32_e32 v36, v62, v36
	v_mov_b32_e32 v47, v33
	v_mov_b32_e32 v25, v21
	v_fmac_f32_e32 v47, 0xbf5db3d7, v36
	v_fmac_f32_e32 v33, 0x3f5db3d7, v36
	v_mul_u32_u24_e32 v36, 30, v40
	v_fmac_f32_e32 v25, 0xbf5db3d7, v57
	v_add_lshl_u32 v121, v36, v41, 3
	v_fma_f32 v22, -0.5, v59, v22
	v_fmac_f32_e32 v21, 0x3f5db3d7, v57
	v_fmac_f32_e32 v32, -0.5, v38
	ds_write2_b64 v121, v[18:19], v[24:25] offset1:10
	ds_write_b64 v121, v[20:21] offset:160
	v_mad_legacy_u16 v18, v42, 30, v43
	v_mov_b32_e32 v26, v22
	v_sub_f32_e32 v38, v39, v54
	v_mov_b32_e32 v46, v32
	v_lshlrev_b32_e32 v122, 3, v18
	v_mad_legacy_u16 v18, v44, 30, v45
	v_fmac_f32_e32 v22, 0xbf5db3d7, v61
	v_fmac_f32_e32 v26, 0x3f5db3d7, v61
	;; [unrolled: 1-line block ×4, first 2 shown]
	v_addc_co_u32_e64 v57, s[4:5], 0, 0, s[4:5]
	v_addc_co_u32_e64 v61, s[4:5], 0, 0, s[6:7]
	v_addc_co_u32_e64 v130, s[4:5], 0, 0, vcc
	v_lshlrev_b32_e32 v123, 3, v18
	ds_write2_b64 v122, v[28:29], v[26:27] offset1:10
	ds_write_b64 v122, v[22:23] offset:160
	ds_write2_b64 v123, v[34:35], v[30:31] offset1:10
	ds_write_b64 v123, v[16:17] offset:160
	s_and_saveexec_b64 s[4:5], s[0:1]
	s_cbranch_execz .LBB0_5
; %bb.4:
	v_lshlrev_b32_e32 v16, 3, v124
	ds_write2_b64 v16, v[52:53], v[46:47] offset1:10
	ds_write_b64 v16, v[32:33] offset:160
.LBB0_5:
	s_or_b64 exec, exec, s[4:5]
	v_add_u32_e32 v16, 0xa00, v113
	s_waitcnt lgkmcnt(0)
	s_barrier
	ds_read2_b64 v[48:51], v16 offset0:4 offset1:220
	v_add_u32_e32 v16, 0x2000, v113
	ds_read2_b64 v[38:41], v16 offset0:56 offset1:218
	v_add_u32_e32 v16, 0x1400, v113
	ds_read2_b64 v[34:37], v113 offset1:162
	ds_read2_b64 v[42:45], v16 offset0:62 offset1:224
	ds_read_b64 v[54:55], v113 offset:11232
	s_and_saveexec_b64 s[4:5], s[0:1]
	s_cbranch_execz .LBB0_7
; %bb.6:
	ds_read_b64 v[52:53], v113 offset:3888
	ds_read_b64 v[46:47], v113 offset:8208
	;; [unrolled: 1-line block ×3, first 2 shown]
.LBB0_7:
	s_or_b64 exec, exec, s[4:5]
	s_movk_i32 s4, 0x89
	v_mul_lo_u16_sdwa v16, v114, s4 dst_sel:DWORD dst_unused:UNUSED_PAD src0_sel:BYTE_0 src1_sel:DWORD
	v_lshrrev_b16_e32 v66, 12, v16
	v_mul_lo_u16_e32 v16, 30, v66
	v_sub_u16_e32 v16, v114, v16
	s_mov_b32 s4, 0x8889
	v_and_b32_e32 v67, 0xff, v16
	v_mul_u32_u24_sdwa v16, v56, s4 dst_sel:DWORD dst_unused:UNUSED_PAD src0_sel:WORD_0 src1_sel:DWORD
	v_lshrrev_b32_e32 v68, 20, v16
	v_mul_lo_u16_e32 v16, 30, v68
	v_sub_u16_e32 v69, v56, v16
	v_lshlrev_b16_e32 v16, 4, v69
	v_lshlrev_b32_e32 v26, 4, v67
	v_mov_b32_e32 v29, s15
	v_add_co_u32_e32 v24, vcc, s14, v16
	v_addc_co_u32_e32 v25, vcc, 0, v29, vcc
	global_load_dwordx4 v[20:23], v26, s[14:15] offset:160
	global_load_dwordx4 v[16:19], v[24:25], off offset:160
	v_mul_u32_u24_sdwa v24, v60, s4 dst_sel:DWORD dst_unused:UNUSED_PAD src0_sel:WORD_0 src1_sel:DWORD
	v_lshrrev_b32_e32 v70, 20, v24
	v_mul_lo_u16_e32 v24, 30, v70
	v_mul_u32_u24_sdwa v28, v129, s4 dst_sel:DWORD dst_unused:UNUSED_PAD src0_sel:WORD_0 src1_sel:DWORD
	v_sub_u16_e32 v71, v60, v24
	v_lshrrev_b32_e32 v117, 20, v28
	v_lshlrev_b16_e32 v24, 4, v71
	v_mul_lo_u16_e32 v28, 30, v117
	v_add_co_u32_e32 v24, vcc, s14, v24
	v_sub_u16_e32 v118, v129, v28
	v_addc_co_u32_e32 v25, vcc, 0, v29, vcc
	v_lshlrev_b16_e32 v28, 4, v118
	v_add_co_u32_e32 v28, vcc, s14, v28
	v_addc_co_u32_e32 v29, vcc, 0, v29, vcc
	global_load_dwordx4 v[24:27], v[24:25], off offset:160
	s_movk_i32 s6, 0x5a
	global_load_dwordx4 v[28:31], v[28:29], off offset:160
	s_waitcnt vmcnt(0) lgkmcnt(0)
	s_barrier
	v_mul_f32_e32 v58, v51, v21
	v_mul_f32_e32 v62, v39, v23
	v_mul_f32_e32 v59, v50, v21
	v_mul_f32_e32 v63, v38, v23
	v_mul_f32_e32 v64, v43, v17
	v_fma_f32 v50, v50, v20, -v58
	v_fma_f32 v38, v38, v22, -v62
	v_mul_f32_e32 v65, v42, v17
	v_mul_f32_e32 v72, v41, v19
	;; [unrolled: 1-line block ×3, first 2 shown]
	v_fmac_f32_e32 v59, v51, v20
	v_fma_f32 v51, v42, v16, -v64
	v_fmac_f32_e32 v63, v39, v22
	v_fmac_f32_e32 v65, v43, v16
	v_fma_f32 v43, v40, v18, -v72
	v_fmac_f32_e32 v73, v41, v18
	v_add_f32_e32 v40, v35, v59
	v_sub_f32_e32 v42, v50, v38
	v_sub_f32_e32 v39, v59, v63
	v_add_f32_e32 v41, v59, v63
	v_mul_f32_e32 v74, v45, v25
	v_mul_f32_e32 v75, v44, v25
	;; [unrolled: 1-line block ×5, first 2 shown]
	v_fmac_f32_e32 v81, v33, v30
	v_add_f32_e32 v33, v50, v38
	v_mul_f32_e32 v78, v47, v29
	v_fmac_f32_e32 v79, v47, v28
	v_fma_f32 v47, v32, v30, -v80
	v_add_f32_e32 v32, v34, v50
	v_add_f32_e32 v50, v36, v51
	v_fma_f32 v34, -0.5, v33, v34
	v_mul_f32_e32 v76, v55, v27
	v_add_f32_e32 v32, v32, v38
	v_add_f32_e32 v33, v40, v63
	;; [unrolled: 1-line block ×3, first 2 shown]
	v_mov_b32_e32 v40, v34
	v_add_f32_e32 v50, v65, v73
	v_fma_f32 v44, v44, v24, -v74
	v_fmac_f32_e32 v75, v45, v24
	v_fma_f32 v45, v54, v26, -v76
	v_fmac_f32_e32 v34, 0xbf5db3d7, v39
	v_fmac_f32_e32 v40, 0x3f5db3d7, v39
	v_add_f32_e32 v39, v37, v65
	v_fmac_f32_e32 v37, -0.5, v50
	v_mul_f32_e32 v77, v54, v27
	v_add_f32_e32 v54, v51, v43
	v_sub_f32_e32 v50, v51, v43
	v_mov_b32_e32 v43, v37
	v_add_f32_e32 v51, v44, v45
	v_fmac_f32_e32 v77, v55, v26
	v_fmac_f32_e32 v43, 0xbf5db3d7, v50
	v_fmac_f32_e32 v37, 0x3f5db3d7, v50
	v_add_f32_e32 v50, v48, v44
	v_fma_f32 v48, -0.5, v51, v48
	v_fma_f32 v36, -0.5, v54, v36
	v_sub_f32_e32 v51, v75, v77
	v_mov_b32_e32 v58, v48
	v_add_f32_e32 v54, v75, v77
	v_fmac_f32_e32 v58, 0x3f5db3d7, v51
	v_fmac_f32_e32 v48, 0xbf5db3d7, v51
	v_add_f32_e32 v51, v49, v75
	v_fmac_f32_e32 v49, -0.5, v54
	v_fma_f32 v46, v46, v28, -v78
	v_sub_f32_e32 v44, v44, v45
	v_mov_b32_e32 v59, v49
	v_fmac_f32_e32 v59, 0xbf5db3d7, v44
	v_fmac_f32_e32 v49, 0x3f5db3d7, v44
	v_add_f32_e32 v44, v52, v46
	v_add_f32_e32 v62, v44, v47
	;; [unrolled: 1-line block ×3, first 2 shown]
	v_fmac_f32_e32 v52, -0.5, v44
	v_sub_f32_e32 v44, v79, v81
	v_mov_b32_e32 v64, v52
	v_fmac_f32_e32 v64, 0x3f5db3d7, v44
	v_fmac_f32_e32 v52, 0xbf5db3d7, v44
	v_add_f32_e32 v44, v53, v79
	v_add_f32_e32 v63, v44, v81
	;; [unrolled: 1-line block ×3, first 2 shown]
	v_fmac_f32_e32 v53, -0.5, v44
	v_sub_f32_e32 v55, v65, v73
	v_fma_f32 v35, -0.5, v41, v35
	v_sub_f32_e32 v44, v46, v47
	v_mov_b32_e32 v65, v53
	v_mov_b32_e32 v41, v35
	v_fmac_f32_e32 v65, 0xbf5db3d7, v44
	v_fmac_f32_e32 v53, 0x3f5db3d7, v44
	v_mul_u32_u24_e32 v44, 0x5a, v66
	v_fmac_f32_e32 v41, 0xbf5db3d7, v42
	v_add_lshl_u32 v125, v44, v67, 3
	v_fmac_f32_e32 v35, 0x3f5db3d7, v42
	ds_write2_b64 v125, v[32:33], v[40:41] offset1:30
	ds_write_b64 v125, v[34:35] offset:480
	v_mad_legacy_u16 v32, v68, s6, v69
	v_mov_b32_e32 v42, v36
	v_lshlrev_b32_e32 v126, 3, v32
	v_mad_legacy_u16 v32, v70, s6, v71
	v_fmac_f32_e32 v42, 0x3f5db3d7, v55
	v_add_f32_e32 v39, v39, v73
	v_add_f32_e32 v50, v50, v45
	;; [unrolled: 1-line block ×3, first 2 shown]
	v_lshlrev_b32_e32 v127, 3, v32
	v_fmac_f32_e32 v36, 0xbf5db3d7, v55
	ds_write2_b64 v126, v[38:39], v[42:43] offset1:30
	ds_write_b64 v126, v[36:37] offset:480
	ds_write2_b64 v127, v[50:51], v[58:59] offset1:30
	ds_write_b64 v127, v[48:49] offset:480
	s_and_saveexec_b64 s[4:5], s[0:1]
	s_cbranch_execz .LBB0_9
; %bb.8:
	v_mad_legacy_u16 v32, v117, s6, v118
	v_lshlrev_b32_e32 v32, 3, v32
	ds_write2_b64 v32, v[62:63], v[64:65] offset1:30
	ds_write_b64 v32, v[52:53] offset:480
.LBB0_9:
	s_or_b64 exec, exec, s[4:5]
	s_waitcnt lgkmcnt(0)
	s_barrier
	ds_read_b64 v[54:55], v113
	ds_read_b64 v[66:67], v113 offset:2160
	ds_read_b64 v[46:47], v113 offset:4320
	ds_read_b64 v[44:45], v113 offset:6480
	ds_read_b64 v[42:43], v113 offset:8640
	ds_read_b64 v[40:41], v113 offset:10800
	s_movk_i32 s4, 0x6c
	v_cmp_gt_u16_e64 s[4:5], s4, v114
	s_and_saveexec_b64 s[6:7], s[4:5]
	s_cbranch_execz .LBB0_11
; %bb.10:
	ds_read_b64 v[50:51], v113 offset:1296
	ds_read_b64 v[58:59], v113 offset:3456
	;; [unrolled: 1-line block ×6, first 2 shown]
.LBB0_11:
	s_or_b64 exec, exec, s[6:7]
	s_movk_i32 s6, 0x5a
	v_add_u32_e32 v32, 0xffffffa6, v114
	v_cmp_gt_u16_e32 vcc, s6, v114
	v_cndmask_b32_e32 v76, v32, v114, vcc
	v_mul_i32_i24_e32 v33, 40, v76
	v_mul_hi_i32_i24_e32 v32, 40, v76
	v_add_co_u32_e32 v68, vcc, s14, v33
	v_mov_b32_e32 v70, s15
	v_addc_co_u32_e32 v69, vcc, v70, v32, vcc
	global_load_dwordx2 v[105:106], v[68:69], off offset:672
	global_load_dwordx4 v[32:35], v[68:69], off offset:656
	global_load_dwordx4 v[36:39], v[68:69], off offset:640
	s_movk_i32 s6, 0x2d83
	s_movk_i32 s12, 0x21c
	s_waitcnt vmcnt(2) lgkmcnt(0)
	v_mul_f32_e32 v79, v40, v106
	s_waitcnt vmcnt(1)
	v_mul_f32_e32 v74, v44, v33
	s_waitcnt vmcnt(0)
	v_mul_f32_e32 v68, v67, v37
	v_fma_f32 v69, v66, v36, -v68
	v_mul_f32_e32 v71, v66, v37
	v_mul_f32_e32 v66, v47, v39
	v_fma_f32 v68, v46, v38, -v66
	v_mul_f32_e32 v72, v46, v39
	;; [unrolled: 3-line block ×3, first 2 shown]
	v_fma_f32 v75, v42, v34, -v44
	v_mul_f32_e32 v77, v42, v35
	v_mul_f32_e32 v42, v41, v106
	v_fma_f32 v78, v40, v105, -v42
	v_mul_u32_u24_sdwa v40, v56, s6 dst_sel:DWORD dst_unused:UNUSED_PAD src0_sel:WORD_0 src1_sel:DWORD
	v_lshrrev_b32_e32 v119, 20, v40
	v_mul_lo_u16_e32 v40, 0x5a, v119
	v_sub_u16_e32 v120, v56, v40
	v_mul_lo_u16_e32 v40, 40, v120
	v_add_co_u32_e32 v66, vcc, s14, v40
	v_fmac_f32_e32 v71, v67, v36
	v_addc_co_u32_e32 v67, vcc, 0, v70, vcc
	v_fmac_f32_e32 v72, v47, v38
	v_fmac_f32_e32 v74, v45, v32
	;; [unrolled: 1-line block ×4, first 2 shown]
	global_load_dwordx2 v[107:108], v[66:67], off offset:672
	global_load_dwordx4 v[40:43], v[66:67], off offset:656
	global_load_dwordx4 v[44:47], v[66:67], off offset:640
	s_movk_i32 s6, 0x59
	v_cmp_lt_u16_e32 vcc, s6, v114
	s_waitcnt vmcnt(0)
	s_barrier
	v_mul_f32_e32 v110, v52, v108
	v_fmac_f32_e32 v110, v53, v107
	v_mul_f32_e32 v66, v59, v45
	v_fma_f32 v80, v58, v44, -v66
	v_mul_f32_e32 v81, v58, v45
	v_mul_f32_e32 v58, v49, v47
	v_fmac_f32_e32 v81, v59, v44
	v_fma_f32 v58, v48, v46, -v58
	v_mul_f32_e32 v59, v48, v47
	v_mul_f32_e32 v48, v63, v41
	v_fmac_f32_e32 v59, v49, v46
	v_fma_f32 v82, v62, v40, -v48
	v_mul_f32_e32 v62, v62, v41
	v_mul_f32_e32 v48, v65, v43
	v_add_f32_e32 v49, v68, v75
	v_fmac_f32_e32 v62, v63, v40
	v_fma_f32 v63, v64, v42, -v48
	v_mul_f32_e32 v48, v53, v108
	v_fma_f32 v49, -0.5, v49, v54
	v_fma_f32 v109, v52, v107, -v48
	v_add_f32_e32 v48, v54, v68
	v_sub_f32_e32 v52, v72, v77
	v_mov_b32_e32 v53, v49
	v_add_f32_e32 v54, v72, v77
	v_fmac_f32_e32 v53, 0x3f5db3d7, v52
	v_fmac_f32_e32 v49, 0xbf5db3d7, v52
	v_add_f32_e32 v52, v55, v72
	v_fmac_f32_e32 v55, -0.5, v54
	v_mul_f32_e32 v83, v64, v43
	v_add_f32_e32 v48, v48, v75
	v_sub_f32_e32 v54, v68, v75
	v_mov_b32_e32 v75, v55
	v_add_f32_e32 v64, v73, v78
	v_fmac_f32_e32 v75, 0xbf5db3d7, v54
	v_fmac_f32_e32 v55, 0x3f5db3d7, v54
	v_add_f32_e32 v54, v69, v73
	v_fmac_f32_e32 v69, -0.5, v64
	v_sub_f32_e32 v64, v74, v79
	v_mov_b32_e32 v67, v69
	v_fmac_f32_e32 v67, 0x3f5db3d7, v64
	v_fmac_f32_e32 v69, 0xbf5db3d7, v64
	v_add_f32_e32 v64, v71, v74
	v_add_f32_e32 v52, v52, v77
	;; [unrolled: 1-line block ×4, first 2 shown]
	v_fmac_f32_e32 v71, -0.5, v64
	v_sub_f32_e32 v64, v73, v78
	v_mov_b32_e32 v70, v71
	v_fmac_f32_e32 v71, 0x3f5db3d7, v64
	v_mul_f32_e32 v73, -0.5, v69
	v_fmac_f32_e32 v70, 0xbf5db3d7, v64
	v_fmac_f32_e32 v73, 0x3f5db3d7, v71
	v_add_f32_e32 v54, v54, v78
	v_mul_f32_e32 v72, 0x3f5db3d7, v70
	v_add_f32_e32 v68, v49, v73
	v_mul_f32_e32 v78, 0xbf5db3d7, v67
	v_sub_f32_e32 v74, v49, v73
	v_add_f32_e32 v49, v58, v63
	v_fmac_f32_e32 v83, v65, v42
	v_add_f32_e32 v64, v48, v54
	v_fmac_f32_e32 v72, 0.5, v67
	v_fmac_f32_e32 v78, 0.5, v70
	v_sub_f32_e32 v70, v48, v54
	v_add_f32_e32 v48, v50, v58
	v_fmac_f32_e32 v50, -0.5, v49
	v_add_f32_e32 v66, v53, v72
	v_add_f32_e32 v65, v52, v77
	v_mul_f32_e32 v79, -0.5, v71
	v_sub_f32_e32 v72, v53, v72
	v_sub_f32_e32 v71, v52, v77
	;; [unrolled: 1-line block ×3, first 2 shown]
	v_mov_b32_e32 v49, v50
	v_add_f32_e32 v53, v59, v83
	v_fmac_f32_e32 v79, 0xbf5db3d7, v69
	v_fmac_f32_e32 v49, 0x3f5db3d7, v52
	;; [unrolled: 1-line block ×3, first 2 shown]
	v_add_f32_e32 v52, v51, v59
	v_fmac_f32_e32 v51, -0.5, v53
	v_add_f32_e32 v67, v75, v78
	v_add_f32_e32 v69, v55, v79
	v_sub_f32_e32 v73, v75, v78
	v_sub_f32_e32 v75, v55, v79
	v_sub_f32_e32 v54, v58, v63
	v_mov_b32_e32 v53, v51
	v_add_f32_e32 v55, v82, v109
	v_fmac_f32_e32 v53, 0xbf5db3d7, v54
	v_fmac_f32_e32 v51, 0x3f5db3d7, v54
	v_add_f32_e32 v54, v80, v82
	v_fmac_f32_e32 v80, -0.5, v55
	v_add_f32_e32 v48, v48, v63
	v_sub_f32_e32 v55, v62, v110
	v_mov_b32_e32 v63, v80
	v_add_f32_e32 v58, v62, v110
	v_fmac_f32_e32 v63, 0x3f5db3d7, v55
	v_fmac_f32_e32 v80, 0xbf5db3d7, v55
	v_add_f32_e32 v55, v81, v62
	v_fmac_f32_e32 v81, -0.5, v58
	v_sub_f32_e32 v58, v82, v109
	v_mov_b32_e32 v77, v81
	v_fmac_f32_e32 v77, 0xbf5db3d7, v58
	v_mul_f32_e32 v62, 0xbf5db3d7, v63
	v_fmac_f32_e32 v81, 0x3f5db3d7, v58
	v_mul_f32_e32 v58, 0x3f5db3d7, v77
	v_fmac_f32_e32 v62, 0.5, v77
	v_mov_b32_e32 v77, 0x21c
	v_cndmask_b32_e32 v77, 0, v77, vcc
	v_fmac_f32_e32 v58, 0.5, v63
	v_mul_f32_e32 v59, -0.5, v80
	v_mul_f32_e32 v63, -0.5, v81
	v_add_lshl_u32 v128, v76, v77, 3
	v_add_f32_e32 v52, v52, v83
	v_add_f32_e32 v54, v54, v109
	;; [unrolled: 1-line block ×3, first 2 shown]
	v_fmac_f32_e32 v59, 0x3f5db3d7, v81
	v_fmac_f32_e32 v63, 0xbf5db3d7, v80
	ds_write2_b64 v128, v[64:65], v[66:67] offset1:90
	v_add_u32_e32 v64, 0x400, v128
	v_sub_f32_e32 v80, v48, v54
	v_sub_f32_e32 v82, v49, v58
	;; [unrolled: 1-line block ×6, first 2 shown]
	ds_write2_b64 v64, v[68:69], v[70:71] offset0:52 offset1:142
	v_add_u32_e32 v64, 0x800, v128
	ds_write2_b64 v64, v[72:73], v[74:75] offset0:104 offset1:194
	s_and_saveexec_b64 s[6:7], s[4:5]
	s_cbranch_execz .LBB0_13
; %bb.12:
	v_add_f32_e32 v54, v48, v54
	v_mad_legacy_u16 v48, v119, s12, v120
	v_add_f32_e32 v53, v53, v62
	v_add_f32_e32 v55, v52, v55
	;; [unrolled: 1-line block ×3, first 2 shown]
	v_lshlrev_b32_e32 v48, 3, v48
	v_add_f32_e32 v51, v51, v63
	v_add_f32_e32 v50, v50, v59
	ds_write2_b64 v48, v[54:55], v[52:53] offset1:90
	v_add_u32_e32 v49, 0x400, v48
	v_add_u32_e32 v48, 0x800, v48
	ds_write2_b64 v49, v[50:51], v[80:81] offset0:52 offset1:142
	ds_write2_b64 v48, v[82:83], v[109:110] offset0:104 offset1:194
.LBB0_13:
	s_or_b64 exec, exec, s[6:7]
	v_add_u32_e32 v48, 0xa00, v113
	s_waitcnt lgkmcnt(0)
	s_barrier
	ds_read2_b64 v[64:67], v48 offset0:4 offset1:220
	v_add_u32_e32 v48, 0x2000, v113
	v_add_u32_e32 v131, 0x1400, v113
	ds_read2_b64 v[68:71], v113 offset1:162
	ds_read2_b64 v[76:79], v48 offset0:56 offset1:218
	ds_read2_b64 v[72:75], v131 offset0:62 offset1:224
	ds_read_b64 v[111:112], v113 offset:11232
	s_and_saveexec_b64 s[6:7], s[0:1]
	s_cbranch_execz .LBB0_15
; %bb.14:
	ds_read_b64 v[80:81], v113 offset:3888
	ds_read_b64 v[82:83], v113 offset:8208
	;; [unrolled: 1-line block ×3, first 2 shown]
.LBB0_15:
	s_or_b64 exec, exec, s[6:7]
	v_lshlrev_b32_e32 v48, 4, v114
	v_mov_b32_e32 v50, s15
	v_add_co_u32_e32 v48, vcc, s14, v48
	v_addc_co_u32_e32 v49, vcc, 0, v50, vcc
	v_add_co_u32_e32 v48, vcc, 0x1000, v48
	v_addc_co_u32_e32 v49, vcc, 0, v49, vcc
	global_load_dwordx4 v[52:55], v[48:49], off offset:144
	v_lshlrev_b64 v[48:49], 4, v[56:57]
	s_movk_i32 s12, 0x1000
	v_add_co_u32_e32 v48, vcc, s14, v48
	v_addc_co_u32_e32 v49, vcc, v50, v49, vcc
	v_add_co_u32_e32 v48, vcc, s12, v48
	v_addc_co_u32_e32 v49, vcc, 0, v49, vcc
	global_load_dwordx4 v[56:59], v[48:49], off offset:144
	v_lshlrev_b64 v[48:49], 4, v[60:61]
	s_movk_i32 s6, 0xffca
	v_add_co_u32_e32 v48, vcc, s14, v48
	v_addc_co_u32_e32 v49, vcc, v50, v49, vcc
	v_add_co_u32_e32 v48, vcc, s12, v48
	v_addc_co_u32_e32 v49, vcc, 0, v49, vcc
	global_load_dwordx4 v[60:63], v[48:49], off offset:144
	v_add_co_u32_e32 v48, vcc, s6, v114
	v_addc_co_u32_e64 v49, s[6:7], 0, -1, vcc
	v_cndmask_b32_e64 v49, v49, v130, s[0:1]
	v_cndmask_b32_e64 v48, v48, v129, s[0:1]
	v_lshlrev_b64 v[48:49], 4, v[48:49]
	v_add_co_u32_e32 v48, vcc, s14, v48
	v_addc_co_u32_e32 v49, vcc, v50, v49, vcc
	v_add_co_u32_e32 v48, vcc, s12, v48
	v_addc_co_u32_e32 v49, vcc, 0, v49, vcc
	global_load_dwordx4 v[48:51], v[48:49], off offset:144
	s_waitcnt vmcnt(3) lgkmcnt(4)
	v_mul_f32_e32 v129, v67, v53
	s_waitcnt lgkmcnt(2)
	v_mul_f32_e32 v132, v77, v55
	v_mul_f32_e32 v130, v66, v53
	;; [unrolled: 1-line block ×3, first 2 shown]
	v_fma_f32 v129, v66, v52, -v129
	v_fma_f32 v132, v76, v54, -v132
	v_fmac_f32_e32 v130, v67, v52
	v_fmac_f32_e32 v133, v77, v54
	v_add_f32_e32 v76, v129, v132
	v_add_f32_e32 v77, v69, v130
	s_waitcnt vmcnt(2)
	v_mul_f32_e32 v135, v78, v59
	s_waitcnt lgkmcnt(1)
	v_mul_f32_e32 v66, v73, v57
	v_mul_f32_e32 v67, v79, v59
	v_fmac_f32_e32 v135, v79, v58
	v_fma_f32 v136, v72, v56, -v66
	v_fma_f32 v137, v78, v58, -v67
	v_sub_f32_e32 v78, v130, v133
	v_add_f32_e32 v130, v130, v133
	v_mul_f32_e32 v134, v72, v57
	v_fmac_f32_e32 v134, v73, v56
	v_add_f32_e32 v72, v68, v129
	s_waitcnt vmcnt(1)
	v_mul_f32_e32 v79, v74, v61
	v_mul_f32_e32 v66, v75, v61
	v_fmac_f32_e32 v79, v75, v60
	v_fma_f32 v75, -0.5, v76, v68
	v_fma_f32 v139, v74, v60, -v66
	v_add_f32_e32 v74, v77, v133
	v_mov_b32_e32 v77, v75
	v_fma_f32 v76, -0.5, v130, v69
	s_waitcnt lgkmcnt(0)
	v_mul_f32_e32 v67, v112, v63
	v_fmac_f32_e32 v75, 0xbf5db3d7, v78
	v_fmac_f32_e32 v77, 0x3f5db3d7, v78
	v_sub_f32_e32 v69, v129, v132
	v_mov_b32_e32 v78, v76
	v_mul_f32_e32 v138, v111, v63
	v_fma_f32 v111, v111, v62, -v67
	v_fmac_f32_e32 v78, 0xbf5db3d7, v69
	v_fmac_f32_e32 v76, 0x3f5db3d7, v69
	s_waitcnt vmcnt(0)
	v_mul_f32_e32 v67, v83, v49
	v_add_f32_e32 v69, v70, v136
	v_mul_f32_e32 v66, v82, v49
	v_fma_f32 v67, v82, v48, -v67
	v_add_f32_e32 v82, v69, v137
	v_add_f32_e32 v69, v136, v137
	v_fma_f32 v70, -0.5, v69, v70
	v_sub_f32_e32 v69, v134, v135
	v_mov_b32_e32 v129, v70
	v_fmac_f32_e32 v129, 0x3f5db3d7, v69
	v_fmac_f32_e32 v70, 0xbf5db3d7, v69
	v_add_f32_e32 v69, v71, v134
	v_fmac_f32_e32 v66, v83, v48
	v_add_f32_e32 v83, v69, v135
	v_add_f32_e32 v69, v134, v135
	v_fmac_f32_e32 v71, -0.5, v69
	v_sub_f32_e32 v69, v136, v137
	v_mov_b32_e32 v130, v71
	v_fmac_f32_e32 v130, 0xbf5db3d7, v69
	v_fmac_f32_e32 v71, 0x3f5db3d7, v69
	v_add_f32_e32 v69, v64, v139
	v_add_f32_e32 v73, v72, v132
	;; [unrolled: 1-line block ×4, first 2 shown]
	v_fmac_f32_e32 v138, v112, v62
	v_fma_f32 v64, -0.5, v69, v64
	v_sub_f32_e32 v69, v79, v138
	v_mov_b32_e32 v134, v64
	v_fmac_f32_e32 v134, 0x3f5db3d7, v69
	v_fmac_f32_e32 v64, 0xbf5db3d7, v69
	v_add_f32_e32 v69, v65, v79
	v_add_f32_e32 v133, v69, v138
	;; [unrolled: 1-line block ×3, first 2 shown]
	v_mul_f32_e32 v72, v110, v51
	v_fmac_f32_e32 v65, -0.5, v69
	v_fma_f32 v72, v109, v50, -v72
	v_sub_f32_e32 v69, v139, v111
	v_mov_b32_e32 v135, v65
	v_mul_f32_e32 v68, v109, v51
	v_fmac_f32_e32 v135, 0xbf5db3d7, v69
	v_fmac_f32_e32 v65, 0x3f5db3d7, v69
	v_add_f32_e32 v69, v67, v72
	v_fmac_f32_e32 v68, v110, v50
	v_fma_f32 v109, -0.5, v69, v80
	v_sub_f32_e32 v69, v66, v68
	v_mov_b32_e32 v111, v109
	v_fmac_f32_e32 v111, 0x3f5db3d7, v69
	v_fmac_f32_e32 v109, 0xbf5db3d7, v69
	v_add_f32_e32 v69, v66, v68
	v_fma_f32 v110, -0.5, v69, v81
	v_sub_f32_e32 v69, v67, v72
	v_mov_b32_e32 v112, v110
	v_fmac_f32_e32 v112, 0xbf5db3d7, v69
	v_fmac_f32_e32 v110, 0x3f5db3d7, v69
	ds_write_b64 v113, v[77:78] offset:4320
	ds_write_b64 v113, v[75:76] offset:8640
	ds_write2_b64 v113, v[73:74], v[82:83] offset1:162
	ds_write_b64 v113, v[70:71] offset:9936
	ds_write_b64 v113, v[132:133] offset:2592
	ds_write2_b64 v131, v[129:130], v[134:135] offset0:62 offset1:224
	ds_write_b64 v113, v[64:65] offset:11232
	s_and_saveexec_b64 s[6:7], s[0:1]
	s_cbranch_execz .LBB0_17
; %bb.16:
	v_add_f32_e32 v64, v81, v66
	v_add_f32_e32 v65, v64, v68
	;; [unrolled: 1-line block ×4, first 2 shown]
	ds_write_b64 v113, v[64:65] offset:3888
	ds_write_b64 v113, v[111:112] offset:8208
	ds_write_b64 v113, v[109:110] offset:12528
.LBB0_17:
	s_or_b64 exec, exec, s[6:7]
	v_mov_b32_e32 v64, s13
	v_addc_co_u32_e64 v72, vcc, 0, v64, s[2:3]
	v_add_co_u32_e32 v64, vcc, 0x32a0, v115
	s_mov_b64 s[2:3], vcc
	v_add_co_u32_e32 v65, vcc, 0x3000, v115
	v_addc_co_u32_e32 v66, vcc, 0, v72, vcc
	s_waitcnt lgkmcnt(0)
	s_barrier
	global_load_dwordx2 v[68:69], v[65:66], off offset:672
	v_addc_co_u32_e64 v65, vcc, 0, v72, s[2:3]
	global_load_dwordx2 v[70:71], v[64:65], off offset:1296
	global_load_dwordx2 v[80:81], v[64:65], off offset:2592
	;; [unrolled: 1-line block ×3, first 2 shown]
	s_movk_i32 s2, 0x4000
	v_add_co_u32_e32 v64, vcc, s2, v115
	v_addc_co_u32_e32 v65, vcc, 0, v72, vcc
	s_movk_i32 s2, 0x5000
	v_add_co_u32_e32 v66, vcc, s2, v115
	v_addc_co_u32_e32 v67, vcc, 0, v72, vcc
	s_movk_i32 s2, 0x6000
	global_load_dwordx2 v[129:130], v[64:65], off offset:1760
	global_load_dwordx2 v[131:132], v[64:65], off offset:3056
	;; [unrolled: 1-line block ×3, first 2 shown]
                                        ; kill: killed $vgpr64 killed $vgpr65
	global_load_dwordx2 v[135:136], v[66:67], off offset:1552
	global_load_dwordx2 v[137:138], v[66:67], off offset:2848
	v_add_co_u32_e32 v64, vcc, s2, v115
	v_addc_co_u32_e32 v65, vcc, 0, v72, vcc
	global_load_dwordx2 v[139:140], v[64:65], off offset:48
	ds_read2_b64 v[64:67], v113 offset1:162
	v_add_u32_e32 v115, 0x800, v113
	v_add_u32_e32 v142, 0x1400, v113
	;; [unrolled: 1-line block ×4, first 2 shown]
	s_waitcnt vmcnt(9) lgkmcnt(0)
	v_mul_f32_e32 v73, v65, v69
	v_mul_f32_e32 v72, v64, v69
	s_waitcnt vmcnt(8)
	v_mul_f32_e32 v74, v67, v71
	v_mul_f32_e32 v69, v66, v71
	v_fma_f32 v71, v64, v68, -v73
	v_fmac_f32_e32 v72, v65, v68
	v_fma_f32 v68, v66, v70, -v74
	v_fmac_f32_e32 v69, v67, v70
	ds_write2_b64 v113, v[71:72], v[68:69] offset1:162
	ds_read2_b64 v[64:67], v115 offset0:68 offset1:230
	ds_read2_b64 v[68:71], v142 offset0:8 offset1:170
	;; [unrolled: 1-line block ×4, first 2 shown]
	s_waitcnt vmcnt(5) lgkmcnt(2)
	v_mul_f32_e32 v147, v69, v130
	v_mul_f32_e32 v145, v65, v81
	;; [unrolled: 1-line block ×6, first 2 shown]
	s_waitcnt vmcnt(4)
	v_mul_f32_e32 v148, v71, v132
	v_mul_f32_e32 v130, v70, v132
	s_waitcnt vmcnt(3) lgkmcnt(1)
	v_mul_f32_e32 v149, v73, v134
	v_mul_f32_e32 v132, v72, v134
	s_waitcnt vmcnt(2)
	v_mul_f32_e32 v150, v75, v136
	v_mul_f32_e32 v134, v74, v136
	s_waitcnt vmcnt(1) lgkmcnt(0)
	v_mul_f32_e32 v151, v77, v138
	v_mul_f32_e32 v136, v76, v138
	s_waitcnt vmcnt(0)
	v_mul_f32_e32 v152, v79, v140
	v_mul_f32_e32 v138, v78, v140
	v_fma_f32 v140, v64, v80, -v145
	v_fmac_f32_e32 v141, v65, v80
	v_fma_f32 v80, v66, v82, -v146
	v_fmac_f32_e32 v81, v67, v82
	;; [unrolled: 2-line block ×8, first 2 shown]
	ds_write2_b64 v115, v[140:141], v[80:81] offset0:68 offset1:230
	ds_write2_b64 v142, v[82:83], v[129:130] offset0:8 offset1:170
	;; [unrolled: 1-line block ×4, first 2 shown]
	s_waitcnt lgkmcnt(0)
	s_barrier
	ds_read2_b64 v[64:67], v113 offset1:162
	ds_read2_b64 v[68:71], v115 offset0:68 offset1:230
	ds_read2_b64 v[72:75], v142 offset0:8 offset1:170
	;; [unrolled: 1-line block ×4, first 2 shown]
	s_waitcnt lgkmcnt(0)
	v_add_f32_e32 v115, v64, v68
	v_sub_f32_e32 v133, v68, v72
	v_add_f32_e32 v129, v72, v76
	v_fma_f32 v129, -0.5, v129, v64
	v_sub_f32_e32 v130, v69, v81
	v_mov_b32_e32 v131, v129
	v_fmac_f32_e32 v131, 0xbf737871, v130
	v_sub_f32_e32 v132, v73, v77
	v_sub_f32_e32 v134, v80, v76
	v_fmac_f32_e32 v129, 0x3f737871, v130
	v_fmac_f32_e32 v131, 0xbf167918, v132
	v_add_f32_e32 v133, v133, v134
	v_fmac_f32_e32 v129, 0x3f167918, v132
	v_fmac_f32_e32 v131, 0x3e9e377a, v133
	;; [unrolled: 1-line block ×3, first 2 shown]
	v_add_f32_e32 v133, v68, v80
	v_fma_f32 v64, -0.5, v133, v64
	v_mov_b32_e32 v133, v64
	v_fmac_f32_e32 v133, 0x3f737871, v132
	v_sub_f32_e32 v134, v72, v68
	v_sub_f32_e32 v135, v76, v80
	v_fmac_f32_e32 v64, 0xbf737871, v132
	v_add_f32_e32 v132, v73, v77
	v_add_f32_e32 v115, v115, v72
	v_fmac_f32_e32 v133, 0xbf167918, v130
	v_add_f32_e32 v134, v134, v135
	v_fmac_f32_e32 v64, 0x3f167918, v130
	v_fma_f32 v132, -0.5, v132, v65
	v_add_f32_e32 v115, v115, v76
	v_fmac_f32_e32 v133, 0x3e9e377a, v134
	v_fmac_f32_e32 v64, 0x3e9e377a, v134
	v_sub_f32_e32 v68, v68, v80
	v_mov_b32_e32 v134, v132
	v_add_f32_e32 v115, v115, v80
	v_fmac_f32_e32 v134, 0x3f737871, v68
	v_sub_f32_e32 v72, v72, v76
	v_sub_f32_e32 v76, v69, v73
	;; [unrolled: 1-line block ×3, first 2 shown]
	v_fmac_f32_e32 v132, 0xbf737871, v68
	v_fmac_f32_e32 v134, 0x3f167918, v72
	v_add_f32_e32 v76, v76, v80
	v_fmac_f32_e32 v132, 0xbf167918, v72
	v_fmac_f32_e32 v134, 0x3e9e377a, v76
	;; [unrolled: 1-line block ×3, first 2 shown]
	v_add_f32_e32 v76, v69, v81
	v_add_f32_e32 v130, v65, v69
	v_fma_f32 v65, -0.5, v76, v65
	v_mov_b32_e32 v135, v65
	v_fmac_f32_e32 v135, 0xbf737871, v72
	v_fmac_f32_e32 v65, 0x3f737871, v72
	;; [unrolled: 1-line block ×4, first 2 shown]
	v_add_f32_e32 v68, v66, v70
	v_add_f32_e32 v68, v68, v74
	v_add_f32_e32 v68, v68, v78
	v_add_f32_e32 v130, v130, v73
	v_add_f32_e32 v80, v68, v82
	v_add_f32_e32 v68, v74, v78
	v_add_f32_e32 v130, v130, v77
	v_sub_f32_e32 v69, v73, v69
	v_sub_f32_e32 v73, v77, v81
	v_fma_f32 v77, -0.5, v68, v66
	v_add_f32_e32 v69, v69, v73
	v_sub_f32_e32 v68, v71, v83
	v_mov_b32_e32 v73, v77
	v_fmac_f32_e32 v135, 0x3e9e377a, v69
	v_fmac_f32_e32 v65, 0x3e9e377a, v69
	;; [unrolled: 1-line block ×3, first 2 shown]
	v_sub_f32_e32 v69, v75, v79
	v_sub_f32_e32 v72, v70, v74
	;; [unrolled: 1-line block ×3, first 2 shown]
	v_fmac_f32_e32 v77, 0x3f737871, v68
	v_fmac_f32_e32 v73, 0xbf167918, v69
	v_add_f32_e32 v72, v72, v76
	v_fmac_f32_e32 v77, 0x3f167918, v69
	v_fmac_f32_e32 v73, 0x3e9e377a, v72
	;; [unrolled: 1-line block ×3, first 2 shown]
	v_add_f32_e32 v72, v70, v82
	v_fma_f32 v66, -0.5, v72, v66
	v_add_f32_e32 v130, v130, v81
	v_mov_b32_e32 v81, v66
	v_fmac_f32_e32 v81, 0x3f737871, v69
	v_fmac_f32_e32 v66, 0xbf737871, v69
	v_fmac_f32_e32 v81, 0xbf167918, v68
	v_fmac_f32_e32 v66, 0x3f167918, v68
	v_add_f32_e32 v68, v67, v71
	v_add_f32_e32 v68, v68, v75
	;; [unrolled: 1-line block ×5, first 2 shown]
	v_sub_f32_e32 v72, v74, v70
	v_sub_f32_e32 v76, v78, v82
	v_fma_f32 v137, -0.5, v68, v67
	v_add_f32_e32 v72, v72, v76
	v_sub_f32_e32 v68, v70, v82
	v_mov_b32_e32 v82, v137
	v_fmac_f32_e32 v81, 0x3e9e377a, v72
	v_fmac_f32_e32 v66, 0x3e9e377a, v72
	v_fmac_f32_e32 v82, 0x3f737871, v68
	v_sub_f32_e32 v69, v74, v78
	v_sub_f32_e32 v70, v71, v75
	;; [unrolled: 1-line block ×3, first 2 shown]
	v_fmac_f32_e32 v137, 0xbf737871, v68
	v_fmac_f32_e32 v82, 0x3f167918, v69
	v_add_f32_e32 v70, v70, v72
	v_fmac_f32_e32 v137, 0xbf167918, v69
	v_fmac_f32_e32 v82, 0x3e9e377a, v70
	;; [unrolled: 1-line block ×3, first 2 shown]
	v_add_f32_e32 v70, v71, v83
	v_fmac_f32_e32 v67, -0.5, v70
	v_mov_b32_e32 v78, v67
	v_sub_f32_e32 v70, v75, v71
	v_sub_f32_e32 v71, v79, v83
	v_fmac_f32_e32 v67, 0x3f737871, v69
	v_fmac_f32_e32 v78, 0xbf737871, v69
	v_add_f32_e32 v70, v70, v71
	v_fmac_f32_e32 v67, 0xbf167918, v68
	v_fmac_f32_e32 v78, 0x3f167918, v68
	;; [unrolled: 1-line block ×4, first 2 shown]
	v_mul_f32_e32 v79, 0xbf167918, v82
	v_mul_f32_e32 v138, 0xbf737871, v67
	;; [unrolled: 1-line block ×3, first 2 shown]
	v_fmac_f32_e32 v79, 0x3f4f1bbd, v73
	v_mul_f32_e32 v83, 0xbf737871, v78
	v_fmac_f32_e32 v138, 0xbe9e377a, v66
	v_mul_f32_e32 v139, 0xbf167918, v137
	;; [unrolled: 2-line block ×3, first 2 shown]
	v_mul_f32_e32 v67, 0xbe9e377a, v67
	v_mul_f32_e32 v137, 0xbf4f1bbd, v137
	v_add_f32_e32 v68, v115, v80
	v_add_f32_e32 v70, v131, v79
	v_fmac_f32_e32 v83, 0x3e9e377a, v81
	v_add_f32_e32 v74, v64, v138
	v_fmac_f32_e32 v139, 0xbf4f1bbd, v77
	v_add_f32_e32 v69, v130, v136
	v_add_f32_e32 v71, v134, v140
	v_fmac_f32_e32 v141, 0x3f737871, v81
	v_fmac_f32_e32 v67, 0x3f737871, v66
	;; [unrolled: 1-line block ×3, first 2 shown]
	v_sub_f32_e32 v64, v64, v138
	v_add_f32_e32 v72, v133, v83
	v_add_f32_e32 v76, v129, v139
	;; [unrolled: 1-line block ×5, first 2 shown]
	v_sub_f32_e32 v78, v115, v80
	v_sub_f32_e32 v80, v131, v79
	;; [unrolled: 1-line block ×9, first 2 shown]
	s_barrier
	ds_write_b128 v116, v[68:71]
	ds_write_b128 v116, v[72:75] offset:16
	ds_write_b128 v116, v[76:79] offset:32
	;; [unrolled: 1-line block ×4, first 2 shown]
	v_add_u32_e32 v64, 0xa00, v113
	s_waitcnt lgkmcnt(0)
	s_barrier
	ds_read2_b64 v[68:71], v64 offset0:4 offset1:220
	v_add_u32_e32 v64, 0x2000, v113
	ds_read2_b64 v[72:75], v113 offset1:162
	ds_read2_b64 v[80:83], v64 offset0:56 offset1:218
	ds_read2_b64 v[76:79], v142 offset0:62 offset1:224
	ds_read_b64 v[64:65], v113 offset:11232
	s_and_saveexec_b64 s[2:3], s[0:1]
	s_cbranch_execz .LBB0_19
; %bb.18:
	ds_read_b64 v[66:67], v113 offset:3888
	ds_read_b64 v[111:112], v113 offset:8208
	;; [unrolled: 1-line block ×3, first 2 shown]
.LBB0_19:
	s_or_b64 exec, exec, s[2:3]
	s_waitcnt lgkmcnt(4)
	v_mul_f32_e32 v115, v5, v71
	v_fmac_f32_e32 v115, v4, v70
	v_mul_f32_e32 v5, v5, v70
	s_waitcnt lgkmcnt(2)
	v_mul_f32_e32 v70, v7, v81
	v_fma_f32 v5, v4, v71, -v5
	v_fmac_f32_e32 v70, v6, v80
	s_waitcnt lgkmcnt(1)
	v_mul_f32_e32 v71, v1, v77
	v_mul_f32_e32 v1, v1, v76
	v_mul_f32_e32 v4, v7, v80
	v_fmac_f32_e32 v71, v0, v76
	v_fma_f32 v76, v0, v77, -v1
	v_mul_f32_e32 v77, v3, v83
	v_mul_f32_e32 v0, v3, v82
	v_add_f32_e32 v1, v115, v70
	v_fma_f32 v6, v6, v81, -v4
	v_fmac_f32_e32 v77, v2, v82
	v_fma_f32 v80, v2, v83, -v0
	v_fma_f32 v2, -0.5, v1, v72
	v_sub_f32_e32 v1, v5, v6
	v_mov_b32_e32 v4, v2
	v_add_f32_e32 v3, v5, v6
	v_fmac_f32_e32 v4, 0xbf5db3d7, v1
	v_fmac_f32_e32 v2, 0x3f5db3d7, v1
	v_add_f32_e32 v1, v73, v5
	v_fma_f32 v3, -0.5, v3, v73
	v_add_f32_e32 v1, v1, v6
	v_sub_f32_e32 v6, v115, v70
	v_mov_b32_e32 v5, v3
	v_add_f32_e32 v7, v71, v77
	v_mul_f32_e32 v81, v9, v79
	v_mul_f32_e32 v0, v9, v78
	v_fmac_f32_e32 v5, 0x3f5db3d7, v6
	v_fmac_f32_e32 v3, 0xbf5db3d7, v6
	v_add_f32_e32 v6, v74, v71
	v_fma_f32 v74, -0.5, v7, v74
	v_fmac_f32_e32 v81, v8, v78
	v_fma_f32 v78, v8, v79, -v0
	s_waitcnt lgkmcnt(0)
	v_mul_f32_e32 v79, v11, v65
	v_sub_f32_e32 v7, v76, v80
	v_mov_b32_e32 v8, v74
	v_add_f32_e32 v9, v76, v80
	v_fmac_f32_e32 v79, v10, v64
	v_mul_f32_e32 v0, v11, v64
	v_fmac_f32_e32 v8, 0xbf5db3d7, v7
	v_fmac_f32_e32 v74, 0x3f5db3d7, v7
	v_add_f32_e32 v7, v75, v76
	v_fmac_f32_e32 v75, -0.5, v9
	v_fma_f32 v64, v10, v65, -v0
	v_sub_f32_e32 v10, v71, v77
	v_mov_b32_e32 v9, v75
	v_add_f32_e32 v11, v81, v79
	v_mul_f32_e32 v82, v13, v112
	v_mul_f32_e32 v0, v13, v111
	v_fmac_f32_e32 v9, 0x3f5db3d7, v10
	v_fmac_f32_e32 v75, 0xbf5db3d7, v10
	v_add_f32_e32 v10, v68, v81
	v_fma_f32 v68, -0.5, v11, v68
	v_fmac_f32_e32 v82, v12, v111
	v_fma_f32 v83, v12, v112, -v0
	v_sub_f32_e32 v11, v78, v64
	v_mov_b32_e32 v12, v68
	v_add_f32_e32 v13, v78, v64
	v_fmac_f32_e32 v12, 0xbf5db3d7, v11
	v_fmac_f32_e32 v68, 0x3f5db3d7, v11
	v_add_f32_e32 v11, v69, v78
	v_fmac_f32_e32 v69, -0.5, v13
	v_mul_f32_e32 v111, v15, v110
	v_mul_f32_e32 v0, v15, v109
	v_sub_f32_e32 v15, v81, v79
	v_mov_b32_e32 v13, v69
	v_fmac_f32_e32 v111, v14, v109
	v_fmac_f32_e32 v13, 0x3f5db3d7, v15
	;; [unrolled: 1-line block ×3, first 2 shown]
	v_add_f32_e32 v15, v66, v82
	v_add_f32_e32 v11, v11, v64
	;; [unrolled: 1-line block ×4, first 2 shown]
	v_fma_f32 v14, v14, v110, -v0
	v_add_f32_e32 v0, v72, v115
	v_fmac_f32_e32 v66, -0.5, v15
	v_add_f32_e32 v0, v0, v70
	v_sub_f32_e32 v15, v83, v14
	v_mov_b32_e32 v70, v66
	v_fmac_f32_e32 v70, 0xbf5db3d7, v15
	v_fmac_f32_e32 v66, 0x3f5db3d7, v15
	v_add_f32_e32 v15, v67, v83
	v_add_f32_e32 v65, v15, v14
	;; [unrolled: 1-line block ×3, first 2 shown]
	v_fmac_f32_e32 v67, -0.5, v14
	v_sub_f32_e32 v14, v82, v111
	v_mov_b32_e32 v71, v67
	v_fmac_f32_e32 v71, 0x3f5db3d7, v14
	v_fmac_f32_e32 v67, 0xbf5db3d7, v14
	v_add_f32_e32 v6, v6, v77
	v_add_f32_e32 v7, v7, v80
	;; [unrolled: 1-line block ×3, first 2 shown]
	s_barrier
	ds_write2_b64 v121, v[0:1], v[4:5] offset1:10
	ds_write_b64 v121, v[2:3] offset:160
	ds_write2_b64 v122, v[6:7], v[8:9] offset1:10
	ds_write_b64 v122, v[74:75] offset:160
	;; [unrolled: 2-line block ×3, first 2 shown]
	s_and_saveexec_b64 s[2:3], s[0:1]
	s_cbranch_execz .LBB0_21
; %bb.20:
	v_lshlrev_b32_e32 v0, 3, v124
	ds_write2_b64 v0, v[64:65], v[70:71] offset1:10
	ds_write_b64 v0, v[66:67] offset:160
.LBB0_21:
	s_or_b64 exec, exec, s[2:3]
	v_add_u32_e32 v8, 0x2000, v113
	s_waitcnt lgkmcnt(0)
	s_barrier
	v_add_u32_e32 v0, 0xa00, v113
	ds_read2_b64 v[12:15], v8 offset0:56 offset1:218
	v_add_u32_e32 v8, 0x1400, v113
	ds_read2_b64 v[4:7], v113 offset1:162
	ds_read2_b64 v[0:3], v0 offset0:4 offset1:220
	ds_read2_b64 v[8:11], v8 offset0:62 offset1:224
	ds_read_b64 v[68:69], v113 offset:11232
	s_and_saveexec_b64 s[2:3], s[0:1]
	s_cbranch_execz .LBB0_23
; %bb.22:
	ds_read_b64 v[64:65], v113 offset:3888
	ds_read_b64 v[70:71], v113 offset:8208
	;; [unrolled: 1-line block ×3, first 2 shown]
.LBB0_23:
	s_or_b64 exec, exec, s[2:3]
	s_waitcnt lgkmcnt(2)
	v_mul_f32_e32 v72, v21, v3
	v_fmac_f32_e32 v72, v20, v2
	v_mul_f32_e32 v2, v21, v2
	v_fma_f32 v2, v20, v3, -v2
	v_mul_f32_e32 v3, v23, v13
	v_fmac_f32_e32 v3, v22, v12
	v_mul_f32_e32 v12, v23, v12
	v_fma_f32 v12, v22, v13, -v12
	s_waitcnt lgkmcnt(1)
	v_mul_f32_e32 v13, v17, v9
	v_fmac_f32_e32 v13, v16, v8
	v_mul_f32_e32 v8, v17, v8
	v_fma_f32 v8, v16, v9, -v8
	v_mul_f32_e32 v9, v19, v15
	v_fmac_f32_e32 v9, v18, v14
	v_mul_f32_e32 v14, v19, v14
	v_fma_f32 v21, v18, v15, -v14
	s_waitcnt lgkmcnt(0)
	v_mul_f32_e32 v14, v27, v68
	v_mul_f32_e32 v22, v25, v11
	v_fma_f32 v23, v26, v69, -v14
	v_mul_f32_e32 v14, v29, v70
	v_fmac_f32_e32 v22, v24, v10
	v_mul_f32_e32 v10, v25, v10
	v_fma_f32 v25, v28, v71, -v14
	v_mul_f32_e32 v14, v31, v66
	v_add_f32_e32 v15, v72, v3
	v_fma_f32 v10, v24, v11, -v10
	v_mul_f32_e32 v11, v27, v69
	v_fma_f32 v27, v30, v67, -v14
	v_add_f32_e32 v14, v4, v72
	v_fma_f32 v4, -0.5, v15, v4
	v_sub_f32_e32 v15, v2, v12
	v_mov_b32_e32 v16, v4
	v_fmac_f32_e32 v16, 0xbf5db3d7, v15
	v_fmac_f32_e32 v4, 0x3f5db3d7, v15
	v_add_f32_e32 v15, v5, v2
	v_add_f32_e32 v2, v2, v12
	v_fma_f32 v5, -0.5, v2, v5
	v_sub_f32_e32 v2, v72, v3
	v_mov_b32_e32 v17, v5
	v_fmac_f32_e32 v17, 0x3f5db3d7, v2
	v_fmac_f32_e32 v5, 0xbf5db3d7, v2
	v_add_f32_e32 v2, v6, v13
	v_add_f32_e32 v18, v2, v9
	;; [unrolled: 1-line block ×3, first 2 shown]
	v_fma_f32 v6, -0.5, v2, v6
	v_sub_f32_e32 v2, v8, v21
	v_mov_b32_e32 v20, v6
	v_fmac_f32_e32 v20, 0xbf5db3d7, v2
	v_fmac_f32_e32 v6, 0x3f5db3d7, v2
	v_add_f32_e32 v2, v7, v8
	v_add_f32_e32 v19, v2, v21
	;; [unrolled: 1-line block ×3, first 2 shown]
	v_fmac_f32_e32 v11, v26, v68
	v_fmac_f32_e32 v7, -0.5, v2
	v_add_f32_e32 v14, v14, v3
	v_sub_f32_e32 v2, v13, v9
	v_mov_b32_e32 v21, v7
	v_add_f32_e32 v3, v22, v11
	v_fmac_f32_e32 v21, 0x3f5db3d7, v2
	v_fmac_f32_e32 v7, 0xbf5db3d7, v2
	v_add_f32_e32 v2, v0, v22
	v_fma_f32 v0, -0.5, v3, v0
	v_mul_f32_e32 v24, v29, v71
	v_mul_f32_e32 v26, v31, v67
	v_sub_f32_e32 v3, v10, v23
	v_mov_b32_e32 v8, v0
	v_add_f32_e32 v9, v10, v23
	v_fmac_f32_e32 v24, v28, v70
	v_fmac_f32_e32 v26, v30, v66
	;; [unrolled: 1-line block ×4, first 2 shown]
	v_add_f32_e32 v3, v1, v10
	v_fmac_f32_e32 v1, -0.5, v9
	v_add_f32_e32 v2, v2, v11
	v_sub_f32_e32 v10, v22, v11
	v_mov_b32_e32 v9, v1
	v_add_f32_e32 v11, v24, v26
	v_fmac_f32_e32 v9, 0x3f5db3d7, v10
	v_fmac_f32_e32 v1, 0xbf5db3d7, v10
	v_add_f32_e32 v10, v64, v24
	v_fmac_f32_e32 v64, -0.5, v11
	v_add_f32_e32 v15, v15, v12
	v_sub_f32_e32 v11, v25, v27
	v_mov_b32_e32 v12, v64
	v_add_f32_e32 v13, v25, v27
	v_fmac_f32_e32 v12, 0xbf5db3d7, v11
	v_fmac_f32_e32 v64, 0x3f5db3d7, v11
	v_add_f32_e32 v11, v65, v25
	v_fmac_f32_e32 v65, -0.5, v13
	v_sub_f32_e32 v22, v24, v26
	v_mov_b32_e32 v13, v65
	v_add_f32_e32 v3, v3, v23
	v_add_f32_e32 v10, v10, v26
	v_add_f32_e32 v11, v11, v27
	v_fmac_f32_e32 v13, 0x3f5db3d7, v22
	v_fmac_f32_e32 v65, 0xbf5db3d7, v22
	s_barrier
	ds_write2_b64 v125, v[14:15], v[16:17] offset1:30
	ds_write_b64 v125, v[4:5] offset:480
	ds_write2_b64 v126, v[18:19], v[20:21] offset1:30
	ds_write_b64 v126, v[6:7] offset:480
	ds_write2_b64 v127, v[2:3], v[8:9] offset1:30
	ds_write_b64 v127, v[0:1] offset:480
	s_and_saveexec_b64 s[2:3], s[0:1]
	s_cbranch_execz .LBB0_25
; %bb.24:
	s_movk_i32 s6, 0x5a
	v_mad_legacy_u16 v4, v117, s6, v118
	v_lshlrev_b32_e32 v4, 3, v4
	ds_write2_b64 v4, v[10:11], v[12:13] offset1:30
	ds_write_b64 v4, v[64:65] offset:480
.LBB0_25:
	s_or_b64 exec, exec, s[2:3]
	s_waitcnt lgkmcnt(0)
	s_barrier
	ds_read_b64 v[4:5], v113
	ds_read_b64 v[20:21], v113 offset:2160
	ds_read_b64 v[18:19], v113 offset:4320
	;; [unrolled: 1-line block ×5, first 2 shown]
	s_and_saveexec_b64 s[2:3], s[4:5]
	s_cbranch_execz .LBB0_27
; %bb.26:
	ds_read_b64 v[2:3], v113 offset:1296
	ds_read_b64 v[8:9], v113 offset:3456
	;; [unrolled: 1-line block ×6, first 2 shown]
.LBB0_27:
	s_or_b64 exec, exec, s[2:3]
	s_waitcnt lgkmcnt(4)
	v_mul_f32_e32 v23, v37, v21
	v_fmac_f32_e32 v23, v36, v20
	v_mul_f32_e32 v20, v37, v20
	v_fma_f32 v20, v36, v21, -v20
	s_waitcnt lgkmcnt(3)
	v_mul_f32_e32 v21, v39, v19
	v_fmac_f32_e32 v21, v38, v18
	v_mul_f32_e32 v18, v39, v18
	v_fma_f32 v18, v38, v19, -v18
	;; [unrolled: 5-line block ×5, first 2 shown]
	v_mul_f32_e32 v7, v45, v8
	v_fma_f32 v31, v44, v9, -v7
	v_mul_f32_e32 v7, v47, v1
	v_mul_f32_e32 v30, v45, v9
	v_fmac_f32_e32 v7, v46, v0
	v_mul_f32_e32 v0, v47, v0
	v_fmac_f32_e32 v30, v44, v8
	v_fma_f32 v8, v46, v1, -v0
	v_mul_f32_e32 v9, v41, v11
	v_mul_f32_e32 v0, v41, v10
	v_fmac_f32_e32 v9, v40, v10
	v_fma_f32 v10, v40, v11, -v0
	v_mul_f32_e32 v0, v43, v12
	v_add_f32_e32 v1, v21, v17
	v_mul_f32_e32 v11, v43, v13
	v_fma_f32 v32, v42, v13, -v0
	v_mul_f32_e32 v0, v108, v64
	v_fma_f32 v1, -0.5, v1, v4
	v_fmac_f32_e32 v11, v42, v12
	v_fma_f32 v34, v107, v65, -v0
	v_add_f32_e32 v0, v4, v21
	v_sub_f32_e32 v4, v18, v14
	v_mov_b32_e32 v25, v1
	v_add_f32_e32 v12, v18, v14
	v_fmac_f32_e32 v25, 0xbf5db3d7, v4
	v_fmac_f32_e32 v1, 0x3f5db3d7, v4
	v_add_f32_e32 v4, v5, v18
	v_fmac_f32_e32 v5, -0.5, v12
	v_add_f32_e32 v0, v0, v17
	v_sub_f32_e32 v12, v21, v17
	v_mov_b32_e32 v17, v5
	v_fmac_f32_e32 v17, 0x3f5db3d7, v12
	v_fmac_f32_e32 v5, 0xbf5db3d7, v12
	v_add_f32_e32 v12, v23, v19
	v_add_f32_e32 v18, v12, v15
	;; [unrolled: 1-line block ×3, first 2 shown]
	v_fmac_f32_e32 v23, -0.5, v12
	v_sub_f32_e32 v12, v16, v6
	v_mov_b32_e32 v21, v23
	v_fmac_f32_e32 v21, 0xbf5db3d7, v12
	v_fmac_f32_e32 v23, 0x3f5db3d7, v12
	v_add_f32_e32 v12, v20, v16
	v_add_f32_e32 v27, v12, v6
	;; [unrolled: 1-line block ×3, first 2 shown]
	v_fmac_f32_e32 v20, -0.5, v6
	v_sub_f32_e32 v6, v19, v15
	v_mov_b32_e32 v15, v20
	v_fmac_f32_e32 v20, 0xbf5db3d7, v6
	v_mul_f32_e32 v16, 0xbf5db3d7, v20
	v_fmac_f32_e32 v15, 0x3f5db3d7, v6
	v_fmac_f32_e32 v16, -0.5, v23
	v_mul_f32_e32 v6, 0xbf5db3d7, v15
	v_add_f32_e32 v22, v1, v16
	v_mul_f32_e32 v20, -0.5, v20
	v_sub_f32_e32 v28, v1, v16
	v_add_f32_e32 v1, v7, v11
	v_add_f32_e32 v4, v4, v14
	v_add_f32_e32 v12, v0, v18
	v_fmac_f32_e32 v6, 0.5, v21
	v_fmac_f32_e32 v20, 0x3f5db3d7, v23
	v_sub_f32_e32 v24, v0, v18
	v_add_f32_e32 v0, v2, v7
	v_fmac_f32_e32 v2, -0.5, v1
	v_mul_f32_e32 v33, v108, v65
	v_add_f32_e32 v14, v25, v6
	v_add_f32_e32 v13, v4, v27
	;; [unrolled: 1-line block ×3, first 2 shown]
	v_sub_f32_e32 v26, v25, v6
	v_sub_f32_e32 v25, v4, v27
	v_sub_f32_e32 v29, v5, v20
	v_sub_f32_e32 v4, v8, v32
	v_mov_b32_e32 v1, v2
	v_add_f32_e32 v5, v8, v32
	v_fmac_f32_e32 v33, v107, v64
	v_fmac_f32_e32 v1, 0xbf5db3d7, v4
	;; [unrolled: 1-line block ×3, first 2 shown]
	v_add_f32_e32 v4, v3, v8
	v_fmac_f32_e32 v3, -0.5, v5
	v_sub_f32_e32 v6, v7, v11
	v_mov_b32_e32 v5, v3
	v_add_f32_e32 v7, v9, v33
	v_fmac_f32_e32 v5, 0x3f5db3d7, v6
	v_fmac_f32_e32 v3, 0xbf5db3d7, v6
	v_add_f32_e32 v6, v30, v9
	v_fmac_f32_e32 v30, -0.5, v7
	v_add_f32_e32 v0, v0, v11
	v_sub_f32_e32 v7, v10, v34
	v_mov_b32_e32 v11, v30
	v_add_f32_e32 v8, v10, v34
	v_fmac_f32_e32 v11, 0xbf5db3d7, v7
	v_fmac_f32_e32 v30, 0x3f5db3d7, v7
	v_add_f32_e32 v7, v31, v10
	v_fmac_f32_e32 v31, -0.5, v8
	v_sub_f32_e32 v8, v9, v33
	v_mov_b32_e32 v10, v31
	v_mul_f32_e32 v19, 0.5, v15
	v_fmac_f32_e32 v10, 0x3f5db3d7, v8
	v_fmac_f32_e32 v19, 0x3f5db3d7, v21
	;; [unrolled: 1-line block ×3, first 2 shown]
	v_mul_f32_e32 v8, 0xbf5db3d7, v10
	v_mul_f32_e32 v10, 0.5, v10
	v_add_f32_e32 v15, v17, v19
	v_fmac_f32_e32 v8, 0.5, v11
	v_mul_f32_e32 v9, 0xbf5db3d7, v31
	v_fmac_f32_e32 v10, 0x3f5db3d7, v11
	v_mul_f32_e32 v11, -0.5, v31
	v_add_f32_e32 v4, v4, v32
	v_add_f32_e32 v6, v6, v33
	v_add_f32_e32 v7, v7, v34
	v_fmac_f32_e32 v9, -0.5, v30
	v_fmac_f32_e32 v11, 0x3f5db3d7, v30
	s_barrier
	ds_write2_b64 v128, v[12:13], v[14:15] offset1:90
	v_add_u32_e32 v12, 0x400, v128
	v_sub_f32_e32 v27, v17, v19
	v_sub_f32_e32 v16, v0, v6
	;; [unrolled: 1-line block ×7, first 2 shown]
	ds_write2_b64 v12, v[22:23], v[24:25] offset0:52 offset1:142
	v_add_u32_e32 v12, 0x800, v128
	ds_write2_b64 v12, v[26:27], v[28:29] offset0:104 offset1:194
	s_and_saveexec_b64 s[2:3], s[4:5]
	s_cbranch_execz .LBB0_29
; %bb.28:
	s_movk_i32 s4, 0x21c
	v_add_f32_e32 v6, v0, v6
	v_mad_legacy_u16 v0, v119, s4, v120
	v_add_f32_e32 v5, v5, v10
	v_add_f32_e32 v7, v4, v7
	;; [unrolled: 1-line block ×3, first 2 shown]
	v_lshlrev_b32_e32 v0, 3, v0
	v_add_f32_e32 v3, v3, v11
	v_add_f32_e32 v2, v2, v9
	ds_write2_b64 v0, v[6:7], v[4:5] offset1:90
	v_add_u32_e32 v1, 0x400, v0
	v_add_u32_e32 v0, 0x800, v0
	ds_write2_b64 v1, v[2:3], v[16:17] offset0:52 offset1:142
	ds_write2_b64 v0, v[18:19], v[20:21] offset0:104 offset1:194
.LBB0_29:
	s_or_b64 exec, exec, s[2:3]
	v_add_u32_e32 v0, 0xa00, v113
	v_add_u32_e32 v8, 0x2000, v113
	;; [unrolled: 1-line block ×3, first 2 shown]
	s_waitcnt lgkmcnt(0)
	s_barrier
	ds_read2_b64 v[4:7], v113 offset1:162
	ds_read2_b64 v[0:3], v0 offset0:4 offset1:220
	ds_read2_b64 v[12:15], v8 offset0:56 offset1:218
	;; [unrolled: 1-line block ×3, first 2 shown]
	ds_read_b64 v[22:23], v113 offset:11232
	s_and_saveexec_b64 s[2:3], s[0:1]
	s_cbranch_execz .LBB0_31
; %bb.30:
	ds_read_b64 v[16:17], v113 offset:3888
	ds_read_b64 v[18:19], v113 offset:8208
	;; [unrolled: 1-line block ×3, first 2 shown]
.LBB0_31:
	s_or_b64 exec, exec, s[2:3]
	s_waitcnt lgkmcnt(3)
	v_mul_f32_e32 v25, v53, v3
	v_fmac_f32_e32 v25, v52, v2
	v_mul_f32_e32 v2, v53, v2
	v_fma_f32 v26, v52, v3, -v2
	s_waitcnt lgkmcnt(2)
	v_mul_f32_e32 v27, v55, v13
	v_mul_f32_e32 v2, v55, v12
	v_fmac_f32_e32 v27, v54, v12
	v_fma_f32 v12, v54, v13, -v2
	s_waitcnt lgkmcnt(1)
	v_mul_f32_e32 v2, v57, v8
	v_fma_f32 v28, v56, v9, -v2
	v_mul_f32_e32 v29, v59, v15
	v_mul_f32_e32 v2, v59, v14
	v_fmac_f32_e32 v29, v58, v14
	v_fma_f32 v14, v58, v15, -v2
	v_mul_f32_e32 v2, v61, v10
	v_fma_f32 v31, v60, v11, -v2
	s_waitcnt lgkmcnt(0)
	v_mul_f32_e32 v2, v63, v22
	v_add_f32_e32 v3, v25, v27
	v_mul_f32_e32 v13, v57, v9
	v_mul_f32_e32 v32, v63, v23
	v_fma_f32 v23, v62, v23, -v2
	v_add_f32_e32 v2, v4, v25
	v_fma_f32 v4, -0.5, v3, v4
	v_fmac_f32_e32 v13, v56, v8
	v_sub_f32_e32 v3, v26, v12
	v_mov_b32_e32 v8, v4
	v_add_f32_e32 v9, v26, v12
	v_mul_f32_e32 v30, v61, v11
	v_fmac_f32_e32 v8, 0xbf5db3d7, v3
	v_fmac_f32_e32 v4, 0x3f5db3d7, v3
	v_add_f32_e32 v3, v5, v26
	v_fma_f32 v5, -0.5, v9, v5
	v_fmac_f32_e32 v30, v60, v10
	v_sub_f32_e32 v10, v25, v27
	v_mov_b32_e32 v9, v5
	v_add_f32_e32 v11, v13, v29
	v_fmac_f32_e32 v9, 0x3f5db3d7, v10
	v_fmac_f32_e32 v5, 0xbf5db3d7, v10
	v_add_f32_e32 v10, v6, v13
	v_fma_f32 v6, -0.5, v11, v6
	v_add_f32_e32 v3, v3, v12
	v_sub_f32_e32 v11, v28, v14
	v_mov_b32_e32 v12, v6
	v_fmac_f32_e32 v12, 0xbf5db3d7, v11
	v_fmac_f32_e32 v6, 0x3f5db3d7, v11
	v_add_f32_e32 v11, v7, v28
	v_add_f32_e32 v11, v11, v14
	;; [unrolled: 1-line block ×3, first 2 shown]
	v_fmac_f32_e32 v32, v62, v22
	v_fmac_f32_e32 v7, -0.5, v14
	v_sub_f32_e32 v14, v13, v29
	v_mov_b32_e32 v13, v7
	v_add_f32_e32 v15, v30, v32
	v_fmac_f32_e32 v13, 0x3f5db3d7, v14
	v_fmac_f32_e32 v7, 0xbf5db3d7, v14
	v_add_f32_e32 v14, v0, v30
	v_fma_f32 v0, -0.5, v15, v0
	v_sub_f32_e32 v15, v31, v23
	v_mov_b32_e32 v22, v0
	v_fmac_f32_e32 v22, 0xbf5db3d7, v15
	v_fmac_f32_e32 v0, 0x3f5db3d7, v15
	v_add_f32_e32 v15, v1, v31
	v_add_f32_e32 v15, v15, v23
	;; [unrolled: 1-line block ×3, first 2 shown]
	v_fmac_f32_e32 v1, -0.5, v23
	v_sub_f32_e32 v25, v30, v32
	v_mov_b32_e32 v23, v1
	v_add_f32_e32 v2, v2, v27
	v_add_f32_e32 v10, v10, v29
	;; [unrolled: 1-line block ×3, first 2 shown]
	v_fmac_f32_e32 v23, 0x3f5db3d7, v25
	v_fmac_f32_e32 v1, 0xbf5db3d7, v25
	ds_write_b64 v113, v[8:9] offset:4320
	ds_write_b64 v113, v[4:5] offset:8640
	ds_write2_b64 v113, v[2:3], v[10:11] offset1:162
	ds_write_b64 v113, v[6:7] offset:9936
	ds_write_b64 v113, v[14:15] offset:2592
	ds_write2_b64 v24, v[12:13], v[22:23] offset0:62 offset1:224
	ds_write_b64 v113, v[0:1] offset:11232
	s_and_saveexec_b64 s[2:3], s[0:1]
	s_cbranch_execz .LBB0_33
; %bb.32:
	v_mul_f32_e32 v0, v49, v18
	v_fma_f32 v2, v48, v19, -v0
	v_mul_f32_e32 v0, v51, v20
	v_fma_f32 v4, v50, v21, -v0
	v_add_f32_e32 v0, v2, v4
	v_mul_f32_e32 v6, v49, v19
	v_mul_f32_e32 v7, v51, v21
	v_fma_f32 v1, -0.5, v0, v17
	v_fmac_f32_e32 v6, v48, v18
	v_fmac_f32_e32 v7, v50, v20
	v_sub_f32_e32 v0, v6, v7
	v_mov_b32_e32 v3, v1
	v_fmac_f32_e32 v3, 0xbf5db3d7, v0
	v_fmac_f32_e32 v1, 0x3f5db3d7, v0
	v_add_f32_e32 v0, v17, v2
	v_add_f32_e32 v5, v0, v4
	;; [unrolled: 1-line block ×3, first 2 shown]
	v_fma_f32 v0, -0.5, v0, v16
	v_sub_f32_e32 v4, v2, v4
	v_mov_b32_e32 v2, v0
	v_fmac_f32_e32 v2, 0x3f5db3d7, v4
	v_fmac_f32_e32 v0, 0xbf5db3d7, v4
	v_add_f32_e32 v4, v16, v6
	v_add_f32_e32 v4, v4, v7
	ds_write_b64 v113, v[4:5] offset:3888
	ds_write_b64 v113, v[0:1] offset:8208
	;; [unrolled: 1-line block ×3, first 2 shown]
.LBB0_33:
	s_or_b64 exec, exec, s[2:3]
	s_waitcnt lgkmcnt(0)
	s_barrier
	ds_read2_b64 v[0:3], v113 offset1:162
	v_mad_u64_u32 v[4:5], s[0:1], s10, v84, 0
	s_mov_b32 s0, 0x30abee4d
	s_mov_b32 s1, 0x3f443a27
	s_waitcnt lgkmcnt(0)
	v_mul_f32_e32 v6, v104, v1
	v_fmac_f32_e32 v6, v103, v0
	v_cvt_f64_f32_e32 v[6:7], v6
	v_mul_f32_e32 v0, v104, v0
	v_fma_f32 v0, v103, v1, -v0
	v_cvt_f64_f32_e32 v[0:1], v0
	v_mul_f64 v[6:7], v[6:7], s[0:1]
	v_mad_u64_u32 v[8:9], s[2:3], s8, v114, 0
	v_mul_f64 v[0:1], v[0:1], s[0:1]
	v_mad_u64_u32 v[10:11], s[2:3], s11, v84, v[5:6]
	v_mov_b32_e32 v5, v9
	v_mad_u64_u32 v[11:12], s[2:3], s9, v114, v[5:6]
	v_mov_b32_e32 v5, v10
	v_cvt_f32_f64_e32 v6, v[6:7]
	v_cvt_f32_f64_e32 v7, v[0:1]
	v_lshlrev_b64 v[0:1], 3, v[4:5]
	v_mul_f32_e32 v4, v102, v3
	v_fmac_f32_e32 v4, v101, v2
	v_mul_f32_e32 v2, v102, v2
	v_fma_f32 v2, v101, v3, -v2
	v_mov_b32_e32 v9, v11
	v_mov_b32_e32 v10, s17
	v_cvt_f64_f32_e32 v[2:3], v2
	v_add_co_u32_e32 v11, vcc, s16, v0
	v_addc_co_u32_e32 v12, vcc, v10, v1, vcc
	v_lshlrev_b64 v[0:1], 3, v[8:9]
	v_cvt_f64_f32_e32 v[4:5], v4
	v_add_co_u32_e32 v10, vcc, v11, v0
	v_add_u32_e32 v0, 0x800, v113
	v_mul_f64 v[8:9], v[2:3], s[0:1]
	v_addc_co_u32_e32 v11, vcc, v12, v1, vcc
	ds_read2_b64 v[0:3], v0 offset0:68 offset1:230
	v_mul_f64 v[4:5], v[4:5], s[0:1]
	global_store_dwordx2 v[10:11], v[6:7], off
	s_mul_i32 s2, s9, 0x510
	s_mul_hi_u32 s3, s8, 0x510
	s_waitcnt lgkmcnt(0)
	v_mul_f32_e32 v6, v96, v1
	v_fmac_f32_e32 v6, v95, v0
	v_mul_f32_e32 v0, v96, v0
	v_fma_f32 v0, v95, v1, -v0
	v_cvt_f64_f32_e32 v[6:7], v6
	v_cvt_f64_f32_e32 v[0:1], v0
	v_cvt_f32_f64_e32 v4, v[4:5]
	v_cvt_f32_f64_e32 v5, v[8:9]
	s_add_i32 s2, s3, s2
	s_mul_i32 s3, s8, 0x510
	v_mov_b32_e32 v9, s2
	v_mul_f64 v[6:7], v[6:7], s[0:1]
	v_add_co_u32_e32 v8, vcc, s3, v10
	v_mul_f64 v[0:1], v[0:1], s[0:1]
	v_addc_co_u32_e32 v9, vcc, v11, v9, vcc
	global_store_dwordx2 v[8:9], v[4:5], off
	v_mul_f32_e32 v5, v92, v3
	v_fmac_f32_e32 v5, v91, v2
	v_mul_f32_e32 v2, v92, v2
	v_fma_f32 v2, v91, v3, -v2
	v_cvt_f64_f32_e32 v[2:3], v2
	v_cvt_f32_f64_e32 v4, v[6:7]
	v_cvt_f64_f32_e32 v[6:7], v5
	v_cvt_f32_f64_e32 v5, v[0:1]
	v_add_u32_e32 v0, 0x1400, v113
	v_mul_f64 v[10:11], v[2:3], s[0:1]
	ds_read2_b64 v[0:3], v0 offset0:8 offset1:170
	v_mov_b32_e32 v12, s2
	v_add_co_u32_e32 v8, vcc, s3, v8
	v_addc_co_u32_e32 v9, vcc, v9, v12, vcc
	global_store_dwordx2 v[8:9], v[4:5], off
	s_waitcnt lgkmcnt(0)
	v_mul_f32_e32 v4, v100, v1
	v_fmac_f32_e32 v4, v99, v0
	v_cvt_f64_f32_e32 v[4:5], v4
	v_mul_f32_e32 v0, v100, v0
	v_fma_f32 v0, v99, v1, -v0
	v_mul_f64 v[6:7], v[6:7], s[0:1]
	v_mul_f64 v[4:5], v[4:5], s[0:1]
	v_cvt_f64_f32_e32 v[0:1], v0
	v_add_co_u32_e32 v8, vcc, s3, v8
	v_mul_f64 v[0:1], v[0:1], s[0:1]
	v_cvt_f32_f64_e32 v6, v[6:7]
	v_cvt_f32_f64_e32 v4, v[4:5]
	v_mul_f32_e32 v5, v98, v3
	v_fmac_f32_e32 v5, v97, v2
	v_mul_f32_e32 v2, v98, v2
	v_cvt_f32_f64_e32 v7, v[10:11]
	v_fma_f32 v2, v97, v3, -v2
	v_cvt_f64_f32_e32 v[2:3], v2
	v_mov_b32_e32 v10, s2
	v_addc_co_u32_e32 v9, vcc, v9, v10, vcc
	global_store_dwordx2 v[8:9], v[6:7], off
	v_cvt_f64_f32_e32 v[6:7], v5
	v_cvt_f32_f64_e32 v5, v[0:1]
	v_add_u32_e32 v0, 0x1c00, v113
	v_mul_f64 v[10:11], v[2:3], s[0:1]
	ds_read2_b64 v[0:3], v0 offset0:76 offset1:238
	v_add_co_u32_e32 v8, vcc, s3, v8
	v_addc_co_u32_e32 v9, vcc, v9, v12, vcc
	global_store_dwordx2 v[8:9], v[4:5], off
	s_waitcnt lgkmcnt(0)
	v_mul_f32_e32 v4, v90, v1
	v_fmac_f32_e32 v4, v89, v0
	v_cvt_f64_f32_e32 v[4:5], v4
	v_mul_f64 v[6:7], v[6:7], s[0:1]
	v_mul_f32_e32 v0, v90, v0
	v_fma_f32 v0, v89, v1, -v0
	v_mul_f64 v[4:5], v[4:5], s[0:1]
	v_cvt_f64_f32_e32 v[0:1], v0
	v_add_co_u32_e32 v8, vcc, s3, v8
	v_cvt_f32_f64_e32 v6, v[6:7]
	v_cvt_f32_f64_e32 v7, v[10:11]
	v_mul_f64 v[0:1], v[0:1], s[0:1]
	v_mov_b32_e32 v10, s2
	v_cvt_f32_f64_e32 v4, v[4:5]
	v_mul_f32_e32 v5, v94, v3
	v_addc_co_u32_e32 v9, vcc, v9, v10, vcc
	v_fmac_f32_e32 v5, v93, v2
	global_store_dwordx2 v[8:9], v[6:7], off
	v_cvt_f64_f32_e32 v[6:7], v5
	v_mul_f32_e32 v2, v94, v2
	v_fma_f32 v2, v93, v3, -v2
	v_cvt_f64_f32_e32 v[2:3], v2
	v_mul_f64 v[6:7], v[6:7], s[0:1]
	v_cvt_f32_f64_e32 v5, v[0:1]
	v_mov_b32_e32 v0, s2
	v_add_co_u32_e32 v8, vcc, s3, v8
	v_addc_co_u32_e32 v9, vcc, v9, v0, vcc
	v_add_u32_e32 v0, 0x2800, v113
	v_mul_f64 v[10:11], v[2:3], s[0:1]
	ds_read2_b64 v[0:3], v0 offset0:16 offset1:178
	global_store_dwordx2 v[8:9], v[4:5], off
	v_cvt_f32_f64_e32 v4, v[6:7]
	v_add_co_u32_e32 v8, vcc, s3, v8
	s_waitcnt lgkmcnt(0)
	v_mul_f32_e32 v6, v88, v1
	v_fmac_f32_e32 v6, v87, v0
	v_mul_f32_e32 v0, v88, v0
	v_fma_f32 v0, v87, v1, -v0
	v_cvt_f32_f64_e32 v5, v[10:11]
	v_cvt_f64_f32_e32 v[6:7], v6
	v_cvt_f64_f32_e32 v[0:1], v0
	v_mov_b32_e32 v10, s2
	v_addc_co_u32_e32 v9, vcc, v9, v10, vcc
	global_store_dwordx2 v[8:9], v[4:5], off
	v_mul_f64 v[4:5], v[6:7], s[0:1]
	v_mul_f64 v[0:1], v[0:1], s[0:1]
	v_mul_f32_e32 v6, v86, v3
	v_fmac_f32_e32 v6, v85, v2
	v_mul_f32_e32 v2, v86, v2
	v_fma_f32 v2, v85, v3, -v2
	v_cvt_f64_f32_e32 v[6:7], v6
	v_cvt_f64_f32_e32 v[2:3], v2
	v_cvt_f32_f64_e32 v4, v[4:5]
	v_cvt_f32_f64_e32 v5, v[0:1]
	v_mul_f64 v[0:1], v[6:7], s[0:1]
	v_mul_f64 v[2:3], v[2:3], s[0:1]
	v_mov_b32_e32 v7, s2
	v_add_co_u32_e32 v6, vcc, s3, v8
	v_addc_co_u32_e32 v7, vcc, v9, v7, vcc
	global_store_dwordx2 v[6:7], v[4:5], off
	v_cvt_f32_f64_e32 v0, v[0:1]
	v_cvt_f32_f64_e32 v1, v[2:3]
	v_mov_b32_e32 v3, s2
	v_add_co_u32_e32 v2, vcc, s3, v6
	v_addc_co_u32_e32 v3, vcc, v7, v3, vcc
	global_store_dwordx2 v[2:3], v[0:1], off
.LBB0_34:
	s_endpgm
	.section	.rodata,"a",@progbits
	.p2align	6, 0x0
	.amdhsa_kernel bluestein_single_back_len1620_dim1_sp_op_CI_CI
		.amdhsa_group_segment_fixed_size 12960
		.amdhsa_private_segment_fixed_size 0
		.amdhsa_kernarg_size 104
		.amdhsa_user_sgpr_count 6
		.amdhsa_user_sgpr_private_segment_buffer 1
		.amdhsa_user_sgpr_dispatch_ptr 0
		.amdhsa_user_sgpr_queue_ptr 0
		.amdhsa_user_sgpr_kernarg_segment_ptr 1
		.amdhsa_user_sgpr_dispatch_id 0
		.amdhsa_user_sgpr_flat_scratch_init 0
		.amdhsa_user_sgpr_private_segment_size 0
		.amdhsa_uses_dynamic_stack 0
		.amdhsa_system_sgpr_private_segment_wavefront_offset 0
		.amdhsa_system_sgpr_workgroup_id_x 1
		.amdhsa_system_sgpr_workgroup_id_y 0
		.amdhsa_system_sgpr_workgroup_id_z 0
		.amdhsa_system_sgpr_workgroup_info 0
		.amdhsa_system_vgpr_workitem_id 0
		.amdhsa_next_free_vgpr 153
		.amdhsa_next_free_sgpr 20
		.amdhsa_reserve_vcc 1
		.amdhsa_reserve_flat_scratch 0
		.amdhsa_float_round_mode_32 0
		.amdhsa_float_round_mode_16_64 0
		.amdhsa_float_denorm_mode_32 3
		.amdhsa_float_denorm_mode_16_64 3
		.amdhsa_dx10_clamp 1
		.amdhsa_ieee_mode 1
		.amdhsa_fp16_overflow 0
		.amdhsa_exception_fp_ieee_invalid_op 0
		.amdhsa_exception_fp_denorm_src 0
		.amdhsa_exception_fp_ieee_div_zero 0
		.amdhsa_exception_fp_ieee_overflow 0
		.amdhsa_exception_fp_ieee_underflow 0
		.amdhsa_exception_fp_ieee_inexact 0
		.amdhsa_exception_int_div_zero 0
	.end_amdhsa_kernel
	.text
.Lfunc_end0:
	.size	bluestein_single_back_len1620_dim1_sp_op_CI_CI, .Lfunc_end0-bluestein_single_back_len1620_dim1_sp_op_CI_CI
                                        ; -- End function
	.section	.AMDGPU.csdata,"",@progbits
; Kernel info:
; codeLenInByte = 11316
; NumSgprs: 24
; NumVgprs: 153
; ScratchSize: 0
; MemoryBound: 0
; FloatMode: 240
; IeeeMode: 1
; LDSByteSize: 12960 bytes/workgroup (compile time only)
; SGPRBlocks: 2
; VGPRBlocks: 38
; NumSGPRsForWavesPerEU: 24
; NumVGPRsForWavesPerEU: 153
; Occupancy: 1
; WaveLimiterHint : 1
; COMPUTE_PGM_RSRC2:SCRATCH_EN: 0
; COMPUTE_PGM_RSRC2:USER_SGPR: 6
; COMPUTE_PGM_RSRC2:TRAP_HANDLER: 0
; COMPUTE_PGM_RSRC2:TGID_X_EN: 1
; COMPUTE_PGM_RSRC2:TGID_Y_EN: 0
; COMPUTE_PGM_RSRC2:TGID_Z_EN: 0
; COMPUTE_PGM_RSRC2:TIDIG_COMP_CNT: 0
	.type	__hip_cuid_ec978f21f54f82db,@object ; @__hip_cuid_ec978f21f54f82db
	.section	.bss,"aw",@nobits
	.globl	__hip_cuid_ec978f21f54f82db
__hip_cuid_ec978f21f54f82db:
	.byte	0                               ; 0x0
	.size	__hip_cuid_ec978f21f54f82db, 1

	.ident	"AMD clang version 19.0.0git (https://github.com/RadeonOpenCompute/llvm-project roc-6.4.0 25133 c7fe45cf4b819c5991fe208aaa96edf142730f1d)"
	.section	".note.GNU-stack","",@progbits
	.addrsig
	.addrsig_sym __hip_cuid_ec978f21f54f82db
	.amdgpu_metadata
---
amdhsa.kernels:
  - .args:
      - .actual_access:  read_only
        .address_space:  global
        .offset:         0
        .size:           8
        .value_kind:     global_buffer
      - .actual_access:  read_only
        .address_space:  global
        .offset:         8
        .size:           8
        .value_kind:     global_buffer
      - .actual_access:  read_only
        .address_space:  global
        .offset:         16
        .size:           8
        .value_kind:     global_buffer
      - .actual_access:  read_only
        .address_space:  global
        .offset:         24
        .size:           8
        .value_kind:     global_buffer
      - .actual_access:  read_only
        .address_space:  global
        .offset:         32
        .size:           8
        .value_kind:     global_buffer
      - .offset:         40
        .size:           8
        .value_kind:     by_value
      - .address_space:  global
        .offset:         48
        .size:           8
        .value_kind:     global_buffer
      - .address_space:  global
        .offset:         56
        .size:           8
        .value_kind:     global_buffer
      - .address_space:  global
        .offset:         64
        .size:           8
        .value_kind:     global_buffer
      - .address_space:  global
        .offset:         72
        .size:           8
        .value_kind:     global_buffer
      - .offset:         80
        .size:           4
        .value_kind:     by_value
      - .address_space:  global
        .offset:         88
        .size:           8
        .value_kind:     global_buffer
      - .address_space:  global
        .offset:         96
        .size:           8
        .value_kind:     global_buffer
    .group_segment_fixed_size: 12960
    .kernarg_segment_align: 8
    .kernarg_segment_size: 104
    .language:       OpenCL C
    .language_version:
      - 2
      - 0
    .max_flat_workgroup_size: 162
    .name:           bluestein_single_back_len1620_dim1_sp_op_CI_CI
    .private_segment_fixed_size: 0
    .sgpr_count:     24
    .sgpr_spill_count: 0
    .symbol:         bluestein_single_back_len1620_dim1_sp_op_CI_CI.kd
    .uniform_work_group_size: 1
    .uses_dynamic_stack: false
    .vgpr_count:     153
    .vgpr_spill_count: 0
    .wavefront_size: 64
amdhsa.target:   amdgcn-amd-amdhsa--gfx906
amdhsa.version:
  - 1
  - 2
...

	.end_amdgpu_metadata
